;; amdgpu-corpus repo=ROCm/rocFFT kind=compiled arch=gfx1201 opt=O3
	.text
	.amdgcn_target "amdgcn-amd-amdhsa--gfx1201"
	.amdhsa_code_object_version 6
	.protected	fft_rtc_fwd_len2000_factors_5_5_5_16_wgs_125_tpt_125_halfLds_half_ip_CI_unitstride_sbrr_C2R_dirReg ; -- Begin function fft_rtc_fwd_len2000_factors_5_5_5_16_wgs_125_tpt_125_halfLds_half_ip_CI_unitstride_sbrr_C2R_dirReg
	.globl	fft_rtc_fwd_len2000_factors_5_5_5_16_wgs_125_tpt_125_halfLds_half_ip_CI_unitstride_sbrr_C2R_dirReg
	.p2align	8
	.type	fft_rtc_fwd_len2000_factors_5_5_5_16_wgs_125_tpt_125_halfLds_half_ip_CI_unitstride_sbrr_C2R_dirReg,@function
fft_rtc_fwd_len2000_factors_5_5_5_16_wgs_125_tpt_125_halfLds_half_ip_CI_unitstride_sbrr_C2R_dirReg: ; @fft_rtc_fwd_len2000_factors_5_5_5_16_wgs_125_tpt_125_halfLds_half_ip_CI_unitstride_sbrr_C2R_dirReg
; %bb.0:
	s_clause 0x2
	s_load_b128 s[4:7], s[0:1], 0x0
	s_load_b64 s[8:9], s[0:1], 0x50
	s_load_b64 s[10:11], s[0:1], 0x18
	v_mul_u32_u24_e32 v1, 0x20d, v0
	v_mov_b32_e32 v3, 0
	s_delay_alu instid0(VALU_DEP_2) | instskip(NEXT) | instid1(VALU_DEP_1)
	v_lshrrev_b32_e32 v1, 16, v1
	v_add_nc_u32_e32 v5, ttmp9, v1
	v_mov_b32_e32 v1, 0
	v_mov_b32_e32 v2, 0
	;; [unrolled: 1-line block ×3, first 2 shown]
	s_wait_kmcnt 0x0
	v_cmp_lt_u64_e64 s2, s[6:7], 2
	s_delay_alu instid0(VALU_DEP_1)
	s_and_b32 vcc_lo, exec_lo, s2
	s_cbranch_vccnz .LBB0_8
; %bb.1:
	s_load_b64 s[2:3], s[0:1], 0x10
	v_mov_b32_e32 v1, 0
	v_mov_b32_e32 v2, 0
	s_add_nc_u64 s[12:13], s[10:11], 8
	s_mov_b64 s[14:15], 1
	s_wait_kmcnt 0x0
	s_add_nc_u64 s[16:17], s[2:3], 8
	s_mov_b32 s3, 0
.LBB0_2:                                ; =>This Inner Loop Header: Depth=1
	s_load_b64 s[18:19], s[16:17], 0x0
                                        ; implicit-def: $vgpr7_vgpr8
	s_mov_b32 s2, exec_lo
	s_wait_kmcnt 0x0
	v_or_b32_e32 v4, s19, v6
	s_delay_alu instid0(VALU_DEP_1)
	v_cmpx_ne_u64_e32 0, v[3:4]
	s_wait_alu 0xfffe
	s_xor_b32 s20, exec_lo, s2
	s_cbranch_execz .LBB0_4
; %bb.3:                                ;   in Loop: Header=BB0_2 Depth=1
	s_cvt_f32_u32 s2, s18
	s_cvt_f32_u32 s21, s19
	s_sub_nc_u64 s[24:25], 0, s[18:19]
	s_wait_alu 0xfffe
	s_delay_alu instid0(SALU_CYCLE_1) | instskip(SKIP_1) | instid1(SALU_CYCLE_2)
	s_fmamk_f32 s2, s21, 0x4f800000, s2
	s_wait_alu 0xfffe
	v_s_rcp_f32 s2, s2
	s_delay_alu instid0(TRANS32_DEP_1) | instskip(SKIP_1) | instid1(SALU_CYCLE_2)
	s_mul_f32 s2, s2, 0x5f7ffffc
	s_wait_alu 0xfffe
	s_mul_f32 s21, s2, 0x2f800000
	s_wait_alu 0xfffe
	s_delay_alu instid0(SALU_CYCLE_2) | instskip(SKIP_1) | instid1(SALU_CYCLE_2)
	s_trunc_f32 s21, s21
	s_wait_alu 0xfffe
	s_fmamk_f32 s2, s21, 0xcf800000, s2
	s_cvt_u32_f32 s23, s21
	s_wait_alu 0xfffe
	s_delay_alu instid0(SALU_CYCLE_1) | instskip(SKIP_1) | instid1(SALU_CYCLE_2)
	s_cvt_u32_f32 s22, s2
	s_wait_alu 0xfffe
	s_mul_u64 s[26:27], s[24:25], s[22:23]
	s_wait_alu 0xfffe
	s_mul_hi_u32 s29, s22, s27
	s_mul_i32 s28, s22, s27
	s_mul_hi_u32 s2, s22, s26
	s_mul_i32 s30, s23, s26
	s_wait_alu 0xfffe
	s_add_nc_u64 s[28:29], s[2:3], s[28:29]
	s_mul_hi_u32 s21, s23, s26
	s_mul_hi_u32 s31, s23, s27
	s_add_co_u32 s2, s28, s30
	s_wait_alu 0xfffe
	s_add_co_ci_u32 s2, s29, s21
	s_mul_i32 s26, s23, s27
	s_add_co_ci_u32 s27, s31, 0
	s_wait_alu 0xfffe
	s_add_nc_u64 s[26:27], s[2:3], s[26:27]
	s_wait_alu 0xfffe
	v_add_co_u32 v4, s2, s22, s26
	s_delay_alu instid0(VALU_DEP_1) | instskip(SKIP_1) | instid1(VALU_DEP_1)
	s_cmp_lg_u32 s2, 0
	s_add_co_ci_u32 s23, s23, s27
	v_readfirstlane_b32 s22, v4
	s_wait_alu 0xfffe
	s_delay_alu instid0(VALU_DEP_1)
	s_mul_u64 s[24:25], s[24:25], s[22:23]
	s_wait_alu 0xfffe
	s_mul_hi_u32 s27, s22, s25
	s_mul_i32 s26, s22, s25
	s_mul_hi_u32 s2, s22, s24
	s_mul_i32 s28, s23, s24
	s_wait_alu 0xfffe
	s_add_nc_u64 s[26:27], s[2:3], s[26:27]
	s_mul_hi_u32 s21, s23, s24
	s_mul_hi_u32 s22, s23, s25
	s_wait_alu 0xfffe
	s_add_co_u32 s2, s26, s28
	s_add_co_ci_u32 s2, s27, s21
	s_mul_i32 s24, s23, s25
	s_add_co_ci_u32 s25, s22, 0
	s_wait_alu 0xfffe
	s_add_nc_u64 s[24:25], s[2:3], s[24:25]
	s_wait_alu 0xfffe
	v_add_co_u32 v4, s2, v4, s24
	s_delay_alu instid0(VALU_DEP_1) | instskip(SKIP_1) | instid1(VALU_DEP_1)
	s_cmp_lg_u32 s2, 0
	s_add_co_ci_u32 s2, s23, s25
	v_mul_hi_u32 v13, v5, v4
	s_wait_alu 0xfffe
	v_mad_co_u64_u32 v[7:8], null, v5, s2, 0
	v_mad_co_u64_u32 v[9:10], null, v6, v4, 0
	;; [unrolled: 1-line block ×3, first 2 shown]
	s_delay_alu instid0(VALU_DEP_3) | instskip(SKIP_1) | instid1(VALU_DEP_4)
	v_add_co_u32 v4, vcc_lo, v13, v7
	s_wait_alu 0xfffd
	v_add_co_ci_u32_e32 v7, vcc_lo, 0, v8, vcc_lo
	s_delay_alu instid0(VALU_DEP_2) | instskip(SKIP_1) | instid1(VALU_DEP_2)
	v_add_co_u32 v4, vcc_lo, v4, v9
	s_wait_alu 0xfffd
	v_add_co_ci_u32_e32 v4, vcc_lo, v7, v10, vcc_lo
	s_wait_alu 0xfffd
	v_add_co_ci_u32_e32 v7, vcc_lo, 0, v12, vcc_lo
	s_delay_alu instid0(VALU_DEP_2) | instskip(SKIP_1) | instid1(VALU_DEP_2)
	v_add_co_u32 v4, vcc_lo, v4, v11
	s_wait_alu 0xfffd
	v_add_co_ci_u32_e32 v9, vcc_lo, 0, v7, vcc_lo
	s_delay_alu instid0(VALU_DEP_2) | instskip(SKIP_1) | instid1(VALU_DEP_3)
	v_mul_lo_u32 v10, s19, v4
	v_mad_co_u64_u32 v[7:8], null, s18, v4, 0
	v_mul_lo_u32 v11, s18, v9
	s_delay_alu instid0(VALU_DEP_2) | instskip(NEXT) | instid1(VALU_DEP_2)
	v_sub_co_u32 v7, vcc_lo, v5, v7
	v_add3_u32 v8, v8, v11, v10
	s_delay_alu instid0(VALU_DEP_1) | instskip(SKIP_1) | instid1(VALU_DEP_1)
	v_sub_nc_u32_e32 v10, v6, v8
	s_wait_alu 0xfffd
	v_subrev_co_ci_u32_e64 v10, s2, s19, v10, vcc_lo
	v_add_co_u32 v11, s2, v4, 2
	s_wait_alu 0xf1ff
	v_add_co_ci_u32_e64 v12, s2, 0, v9, s2
	v_sub_co_u32 v13, s2, v7, s18
	v_sub_co_ci_u32_e32 v8, vcc_lo, v6, v8, vcc_lo
	s_wait_alu 0xf1ff
	v_subrev_co_ci_u32_e64 v10, s2, 0, v10, s2
	s_delay_alu instid0(VALU_DEP_3) | instskip(NEXT) | instid1(VALU_DEP_3)
	v_cmp_le_u32_e32 vcc_lo, s18, v13
	v_cmp_eq_u32_e64 s2, s19, v8
	s_wait_alu 0xfffd
	v_cndmask_b32_e64 v13, 0, -1, vcc_lo
	v_cmp_le_u32_e32 vcc_lo, s19, v10
	s_wait_alu 0xfffd
	v_cndmask_b32_e64 v14, 0, -1, vcc_lo
	v_cmp_le_u32_e32 vcc_lo, s18, v7
	;; [unrolled: 3-line block ×3, first 2 shown]
	s_wait_alu 0xfffd
	v_cndmask_b32_e64 v15, 0, -1, vcc_lo
	v_cmp_eq_u32_e32 vcc_lo, s19, v10
	s_wait_alu 0xf1ff
	s_delay_alu instid0(VALU_DEP_2)
	v_cndmask_b32_e64 v7, v15, v7, s2
	s_wait_alu 0xfffd
	v_cndmask_b32_e32 v10, v14, v13, vcc_lo
	v_add_co_u32 v13, vcc_lo, v4, 1
	s_wait_alu 0xfffd
	v_add_co_ci_u32_e32 v14, vcc_lo, 0, v9, vcc_lo
	s_delay_alu instid0(VALU_DEP_3) | instskip(SKIP_2) | instid1(VALU_DEP_3)
	v_cmp_ne_u32_e32 vcc_lo, 0, v10
	s_wait_alu 0xfffd
	v_cndmask_b32_e32 v10, v13, v11, vcc_lo
	v_cndmask_b32_e32 v8, v14, v12, vcc_lo
	v_cmp_ne_u32_e32 vcc_lo, 0, v7
	s_wait_alu 0xfffd
	s_delay_alu instid0(VALU_DEP_2)
	v_dual_cndmask_b32 v7, v4, v10 :: v_dual_cndmask_b32 v8, v9, v8
.LBB0_4:                                ;   in Loop: Header=BB0_2 Depth=1
	s_wait_alu 0xfffe
	s_and_not1_saveexec_b32 s2, s20
	s_cbranch_execz .LBB0_6
; %bb.5:                                ;   in Loop: Header=BB0_2 Depth=1
	v_cvt_f32_u32_e32 v4, s18
	s_sub_co_i32 s20, 0, s18
	s_delay_alu instid0(VALU_DEP_1) | instskip(NEXT) | instid1(TRANS32_DEP_1)
	v_rcp_iflag_f32_e32 v4, v4
	v_mul_f32_e32 v4, 0x4f7ffffe, v4
	s_delay_alu instid0(VALU_DEP_1) | instskip(SKIP_1) | instid1(VALU_DEP_1)
	v_cvt_u32_f32_e32 v4, v4
	s_wait_alu 0xfffe
	v_mul_lo_u32 v7, s20, v4
	s_delay_alu instid0(VALU_DEP_1) | instskip(NEXT) | instid1(VALU_DEP_1)
	v_mul_hi_u32 v7, v4, v7
	v_add_nc_u32_e32 v4, v4, v7
	s_delay_alu instid0(VALU_DEP_1) | instskip(NEXT) | instid1(VALU_DEP_1)
	v_mul_hi_u32 v4, v5, v4
	v_mul_lo_u32 v7, v4, s18
	v_add_nc_u32_e32 v8, 1, v4
	s_delay_alu instid0(VALU_DEP_2) | instskip(NEXT) | instid1(VALU_DEP_1)
	v_sub_nc_u32_e32 v7, v5, v7
	v_subrev_nc_u32_e32 v9, s18, v7
	v_cmp_le_u32_e32 vcc_lo, s18, v7
	s_wait_alu 0xfffd
	s_delay_alu instid0(VALU_DEP_2) | instskip(NEXT) | instid1(VALU_DEP_1)
	v_dual_cndmask_b32 v7, v7, v9 :: v_dual_cndmask_b32 v4, v4, v8
	v_cmp_le_u32_e32 vcc_lo, s18, v7
	s_delay_alu instid0(VALU_DEP_2) | instskip(SKIP_1) | instid1(VALU_DEP_1)
	v_add_nc_u32_e32 v8, 1, v4
	s_wait_alu 0xfffd
	v_dual_cndmask_b32 v7, v4, v8 :: v_dual_mov_b32 v8, v3
.LBB0_6:                                ;   in Loop: Header=BB0_2 Depth=1
	s_wait_alu 0xfffe
	s_or_b32 exec_lo, exec_lo, s2
	s_load_b64 s[20:21], s[12:13], 0x0
	s_delay_alu instid0(VALU_DEP_1)
	v_mul_lo_u32 v4, v8, s18
	v_mul_lo_u32 v11, v7, s19
	v_mad_co_u64_u32 v[9:10], null, v7, s18, 0
	s_add_nc_u64 s[14:15], s[14:15], 1
	s_add_nc_u64 s[12:13], s[12:13], 8
	s_wait_alu 0xfffe
	v_cmp_ge_u64_e64 s2, s[14:15], s[6:7]
	s_add_nc_u64 s[16:17], s[16:17], 8
	s_delay_alu instid0(VALU_DEP_2) | instskip(NEXT) | instid1(VALU_DEP_3)
	v_add3_u32 v4, v10, v11, v4
	v_sub_co_u32 v5, vcc_lo, v5, v9
	s_wait_alu 0xfffd
	s_delay_alu instid0(VALU_DEP_2) | instskip(SKIP_3) | instid1(VALU_DEP_2)
	v_sub_co_ci_u32_e32 v4, vcc_lo, v6, v4, vcc_lo
	s_and_b32 vcc_lo, exec_lo, s2
	s_wait_kmcnt 0x0
	v_mul_lo_u32 v6, s21, v5
	v_mul_lo_u32 v4, s20, v4
	v_mad_co_u64_u32 v[1:2], null, s20, v5, v[1:2]
	s_delay_alu instid0(VALU_DEP_1)
	v_add3_u32 v2, v6, v2, v4
	s_wait_alu 0xfffe
	s_cbranch_vccnz .LBB0_9
; %bb.7:                                ;   in Loop: Header=BB0_2 Depth=1
	v_dual_mov_b32 v5, v7 :: v_dual_mov_b32 v6, v8
	s_branch .LBB0_2
.LBB0_8:
	v_dual_mov_b32 v8, v6 :: v_dual_mov_b32 v7, v5
.LBB0_9:
	s_lshl_b64 s[2:3], s[6:7], 3
	v_mul_hi_u32 v5, 0x20c49bb, v0
	s_wait_alu 0xfffe
	s_add_nc_u64 s[2:3], s[10:11], s[2:3]
	s_load_b64 s[2:3], s[2:3], 0x0
	s_load_b64 s[0:1], s[0:1], 0x20
	s_wait_kmcnt 0x0
	v_mul_lo_u32 v3, s2, v8
	v_mul_lo_u32 v4, s3, v7
	v_mad_co_u64_u32 v[1:2], null, s2, v7, v[1:2]
	v_cmp_gt_u64_e32 vcc_lo, s[0:1], v[7:8]
	s_delay_alu instid0(VALU_DEP_2) | instskip(SKIP_1) | instid1(VALU_DEP_2)
	v_add3_u32 v2, v4, v2, v3
	v_mul_u32_u24_e32 v4, 0x7d, v5
	v_lshlrev_b64_e32 v[2:3], 2, v[1:2]
	s_delay_alu instid0(VALU_DEP_2)
	v_sub_nc_u32_e32 v0, v0, v4
	s_and_saveexec_b32 s1, vcc_lo
	s_cbranch_execz .LBB0_13
; %bb.10:
	v_mov_b32_e32 v1, 0
	s_delay_alu instid0(VALU_DEP_3) | instskip(SKIP_2) | instid1(VALU_DEP_3)
	v_add_co_u32 v4, s0, s8, v2
	s_wait_alu 0xf1ff
	v_add_co_ci_u32_e64 v5, s0, s9, v3, s0
	v_lshlrev_b64_e32 v[6:7], 2, v[0:1]
	s_mov_b32 s2, exec_lo
	s_delay_alu instid0(VALU_DEP_1) | instskip(SKIP_1) | instid1(VALU_DEP_2)
	v_add_co_u32 v6, s0, v4, v6
	s_wait_alu 0xf1ff
	v_add_co_ci_u32_e64 v7, s0, v5, v7, s0
	s_clause 0xf
	global_load_b32 v8, v[6:7], off
	global_load_b32 v9, v[6:7], off offset:500
	global_load_b32 v10, v[6:7], off offset:1000
	;; [unrolled: 1-line block ×15, first 2 shown]
	v_lshl_add_u32 v7, v0, 2, 0
	s_delay_alu instid0(VALU_DEP_1)
	v_add_nc_u32_e32 v24, 0x600, v7
	v_add_nc_u32_e32 v23, 0x200, v7
	;; [unrolled: 1-line block ×7, first 2 shown]
	s_wait_loadcnt 0xe
	ds_store_2addr_b32 v7, v8, v9 offset1:125
	s_wait_loadcnt 0xc
	ds_store_2addr_b32 v23, v10, v11 offset0:122 offset1:247
	s_wait_loadcnt 0xa
	ds_store_2addr_b32 v24, v12, v13 offset0:116 offset1:241
	s_wait_loadcnt 0x8
	ds_store_2addr_b32 v25, v14, v15 offset0:110 offset1:235
	s_wait_loadcnt 0x6
	ds_store_2addr_b32 v26, v16, v17 offset0:104 offset1:229
	s_wait_loadcnt 0x4
	ds_store_2addr_b32 v27, v18, v19 offset0:98 offset1:223
	s_wait_loadcnt 0x2
	ds_store_2addr_b32 v28, v20, v21 offset0:92 offset1:217
	s_wait_loadcnt 0x0
	ds_store_2addr_b32 v29, v22, v6 offset0:86 offset1:211
	v_cmpx_eq_u32_e32 0x7c, v0
	s_cbranch_execz .LBB0_12
; %bb.11:
	global_load_b32 v4, v[4:5], off offset:8000
	v_mov_b32_e32 v0, 0x7c
	s_wait_loadcnt 0x0
	ds_store_b32 v1, v4 offset:8000
.LBB0_12:
	s_wait_alu 0xfffe
	s_or_b32 exec_lo, exec_lo, s2
.LBB0_13:
	s_wait_alu 0xfffe
	s_or_b32 exec_lo, exec_lo, s1
	v_lshlrev_b32_e32 v1, 2, v0
	global_wb scope:SCOPE_SE
	s_wait_dscnt 0x0
	s_barrier_signal -1
	s_barrier_wait -1
	global_inv scope:SCOPE_SE
	v_add_nc_u32_e32 v18, 0, v1
	v_sub_nc_u32_e32 v6, 0, v1
	s_mov_b32 s1, exec_lo
                                        ; implicit-def: $vgpr4_vgpr5
	ds_load_u16 v9, v18
	ds_load_u16 v10, v6 offset:8000
	s_wait_dscnt 0x0
	v_add_f16_e32 v8, v10, v9
	v_sub_f16_e32 v7, v9, v10
	v_cmpx_ne_u32_e32 0, v0
	s_wait_alu 0xfffe
	s_xor_b32 s1, exec_lo, s1
	s_cbranch_execz .LBB0_15
; %bb.14:
	v_mov_b32_e32 v1, 0
	v_add_f16_e32 v8, v10, v9
	v_sub_f16_e32 v9, v9, v10
	s_delay_alu instid0(VALU_DEP_3) | instskip(NEXT) | instid1(VALU_DEP_1)
	v_lshlrev_b64_e32 v[4:5], 2, v[0:1]
	v_add_co_u32 v4, s0, s4, v4
	s_wait_alu 0xf1ff
	s_delay_alu instid0(VALU_DEP_2)
	v_add_co_ci_u32_e64 v5, s0, s5, v5, s0
	global_load_b32 v4, v[4:5], off offset:7980
	ds_load_u16 v5, v6 offset:8002
	ds_load_u16 v7, v18 offset:2
	s_wait_dscnt 0x0
	v_add_f16_e32 v10, v5, v7
	v_sub_f16_e32 v5, v7, v5
	s_wait_loadcnt 0x0
	v_lshrrev_b32_e32 v11, 16, v4
	s_delay_alu instid0(VALU_DEP_1) | instskip(NEXT) | instid1(VALU_DEP_3)
	v_fma_f16 v12, -v9, v11, v8
	v_fma_f16 v13, v10, v11, -v5
	v_fma_f16 v7, v10, v11, v5
	v_fma_f16 v8, v9, v11, v8
	s_delay_alu instid0(VALU_DEP_4) | instskip(NEXT) | instid1(VALU_DEP_4)
	v_fmac_f16_e32 v12, v4, v10
	v_fmac_f16_e32 v13, v9, v4
	s_delay_alu instid0(VALU_DEP_4) | instskip(NEXT) | instid1(VALU_DEP_4)
	v_fmac_f16_e32 v7, v9, v4
	v_fma_f16 v8, -v4, v10, v8
	v_dual_mov_b32 v5, v1 :: v_dual_mov_b32 v4, v0
	s_delay_alu instid0(VALU_DEP_4)
	v_pack_b32_f16 v9, v12, v13
	ds_store_b32 v6, v9 offset:8000
.LBB0_15:
	s_wait_alu 0xfffe
	s_and_not1_saveexec_b32 s0, s1
	s_cbranch_execz .LBB0_17
; %bb.16:
	v_mov_b32_e32 v1, 0
	ds_load_b32 v4, v1 offset:4000
	s_wait_dscnt 0x0
	v_pk_mul_f16 v9, 0xc0004000, v4
	v_mov_b32_e32 v4, 0
	v_mov_b32_e32 v5, 0
	ds_store_b32 v1, v9 offset:4000
.LBB0_17:
	s_wait_alu 0xfffe
	s_or_b32 exec_lo, exec_lo, s0
	v_lshlrev_b64_e32 v[4:5], 2, v[4:5]
	s_add_nc_u64 s[0:1], s[4:5], 0x1f2c
	v_perm_b32 v7, v7, v8, 0x5040100
	v_add_nc_u32_e32 v23, 0x600, v18
	s_wait_alu 0xfffe
	s_delay_alu instid0(VALU_DEP_3)
	v_add_co_u32 v4, s0, s0, v4
	s_wait_alu 0xf1ff
	v_add_co_ci_u32_e64 v5, s0, s1, v5, s0
	v_cmp_gt_u32_e64 s0, 25, v0
	s_clause 0x6
	global_load_b32 v1, v[4:5], off offset:500
	global_load_b32 v9, v[4:5], off offset:1000
	;; [unrolled: 1-line block ×7, first 2 shown]
	ds_store_b32 v18, v7
	ds_load_b32 v5, v18 offset:500
	ds_load_b32 v7, v6 offset:7500
	s_wait_dscnt 0x1
	v_lshrrev_b32_e32 v8, 16, v5
	s_wait_dscnt 0x0
	v_lshrrev_b32_e32 v14, 16, v7
	v_add_f16_e32 v15, v5, v7
	v_sub_f16_e32 v5, v5, v7
	s_delay_alu instid0(VALU_DEP_3) | instskip(SKIP_3) | instid1(VALU_DEP_1)
	v_add_f16_e32 v7, v14, v8
	v_sub_f16_e32 v8, v8, v14
	s_wait_loadcnt 0x6
	v_lshrrev_b32_e32 v16, 16, v1
	v_fma_f16 v14, v5, v16, v15
	s_delay_alu instid0(VALU_DEP_3) | instskip(SKIP_2) | instid1(VALU_DEP_4)
	v_fma_f16 v17, v7, v16, v8
	v_fma_f16 v15, -v5, v16, v15
	v_fma_f16 v8, v7, v16, -v8
	v_fma_f16 v14, -v1, v7, v14
	s_delay_alu instid0(VALU_DEP_4) | instskip(NEXT) | instid1(VALU_DEP_4)
	v_fmac_f16_e32 v17, v5, v1
	v_fmac_f16_e32 v15, v1, v7
	s_delay_alu instid0(VALU_DEP_4) | instskip(NEXT) | instid1(VALU_DEP_3)
	v_fmac_f16_e32 v8, v5, v1
	v_pack_b32_f16 v1, v14, v17
	s_wait_loadcnt 0x5
	v_lshrrev_b32_e32 v14, 16, v9
	s_delay_alu instid0(VALU_DEP_3)
	v_pack_b32_f16 v5, v15, v8
	v_lshlrev_b32_e32 v17, 4, v0
	ds_store_b32 v18, v1 offset:500
	ds_store_b32 v6, v5 offset:7500
	ds_load_b32 v1, v18 offset:1000
	ds_load_b32 v5, v6 offset:7000
	s_wait_dscnt 0x1
	v_lshrrev_b32_e32 v7, 16, v1
	s_wait_dscnt 0x0
	v_lshrrev_b32_e32 v8, 16, v5
	v_add_f16_e32 v15, v1, v5
	v_sub_f16_e32 v1, v1, v5
	s_delay_alu instid0(VALU_DEP_3) | instskip(SKIP_1) | instid1(VALU_DEP_3)
	v_add_f16_e32 v5, v8, v7
	v_sub_f16_e32 v7, v7, v8
	v_fma_f16 v8, v1, v14, v15
	v_fma_f16 v15, -v1, v14, v15
	s_delay_alu instid0(VALU_DEP_3) | instskip(SKIP_1) | instid1(VALU_DEP_4)
	v_fma_f16 v16, v5, v14, v7
	v_fma_f16 v7, v5, v14, -v7
	v_fma_f16 v8, -v9, v5, v8
	s_delay_alu instid0(VALU_DEP_4) | instskip(NEXT) | instid1(VALU_DEP_4)
	v_fmac_f16_e32 v15, v9, v5
	v_fmac_f16_e32 v16, v1, v9
	s_delay_alu instid0(VALU_DEP_4) | instskip(SKIP_2) | instid1(VALU_DEP_3)
	v_fmac_f16_e32 v7, v1, v9
	s_wait_loadcnt 0x4
	v_lshrrev_b32_e32 v9, 16, v10
	v_pack_b32_f16 v1, v8, v16
	s_delay_alu instid0(VALU_DEP_3)
	v_pack_b32_f16 v5, v15, v7
	ds_store_b32 v18, v1 offset:1000
	ds_store_b32 v6, v5 offset:7000
	ds_load_b32 v1, v18 offset:1500
	ds_load_b32 v5, v6 offset:6500
	s_wait_dscnt 0x1
	v_lshrrev_b32_e32 v7, 16, v1
	s_wait_dscnt 0x0
	v_lshrrev_b32_e32 v8, 16, v5
	v_add_f16_e32 v14, v1, v5
	v_sub_f16_e32 v1, v1, v5
	s_delay_alu instid0(VALU_DEP_3) | instskip(SKIP_1) | instid1(VALU_DEP_3)
	v_add_f16_e32 v5, v8, v7
	v_sub_f16_e32 v7, v7, v8
	v_fma_f16 v8, v1, v9, v14
	v_fma_f16 v14, -v1, v9, v14
	s_delay_alu instid0(VALU_DEP_3) | instskip(SKIP_1) | instid1(VALU_DEP_4)
	v_fma_f16 v15, v5, v9, v7
	v_fma_f16 v7, v5, v9, -v7
	v_fma_f16 v8, -v10, v5, v8
	s_delay_alu instid0(VALU_DEP_4) | instskip(SKIP_4) | instid1(VALU_DEP_2)
	v_fmac_f16_e32 v14, v10, v5
	s_wait_loadcnt 0x3
	v_lshrrev_b32_e32 v9, 16, v11
	v_fmac_f16_e32 v15, v1, v10
	v_fmac_f16_e32 v7, v1, v10
	v_pack_b32_f16 v1, v8, v15
	s_delay_alu instid0(VALU_DEP_2)
	v_pack_b32_f16 v5, v14, v7
	ds_store_b32 v18, v1 offset:1500
	ds_store_b32 v6, v5 offset:6500
	ds_load_b32 v1, v18 offset:2000
	ds_load_b32 v5, v6 offset:6000
	v_add_nc_u32_e32 v15, 0x1c00, v18
	s_wait_dscnt 0x1
	v_lshrrev_b32_e32 v7, 16, v1
	s_wait_dscnt 0x0
	v_lshrrev_b32_e32 v8, 16, v5
	v_add_f16_e32 v10, v1, v5
	v_sub_f16_e32 v1, v1, v5
	s_delay_alu instid0(VALU_DEP_3) | instskip(SKIP_1) | instid1(VALU_DEP_3)
	v_add_f16_e32 v5, v8, v7
	v_sub_f16_e32 v7, v7, v8
	v_fma_f16 v8, v1, v9, v10
	v_fma_f16 v10, -v1, v9, v10
	s_delay_alu instid0(VALU_DEP_3) | instskip(SKIP_1) | instid1(VALU_DEP_4)
	v_fma_f16 v14, v5, v9, v7
	v_fma_f16 v7, v5, v9, -v7
	v_fma_f16 v8, -v11, v5, v8
	s_delay_alu instid0(VALU_DEP_4) | instskip(SKIP_4) | instid1(VALU_DEP_2)
	v_fmac_f16_e32 v10, v11, v5
	s_wait_loadcnt 0x2
	v_lshrrev_b32_e32 v9, 16, v12
	v_fmac_f16_e32 v14, v1, v11
	v_fmac_f16_e32 v7, v1, v11
	v_pack_b32_f16 v1, v8, v14
	s_delay_alu instid0(VALU_DEP_2)
	v_pack_b32_f16 v5, v10, v7
	ds_store_b32 v18, v1 offset:2000
	ds_store_b32 v6, v5 offset:6000
	ds_load_b32 v1, v18 offset:2500
	ds_load_b32 v5, v6 offset:5500
	s_wait_dscnt 0x1
	v_lshrrev_b32_e32 v7, 16, v1
	s_wait_dscnt 0x0
	v_lshrrev_b32_e32 v8, 16, v5
	v_add_f16_e32 v10, v1, v5
	v_sub_f16_e32 v1, v1, v5
	s_delay_alu instid0(VALU_DEP_3) | instskip(SKIP_1) | instid1(VALU_DEP_3)
	v_add_f16_e32 v5, v8, v7
	v_sub_f16_e32 v7, v7, v8
	v_fma_f16 v8, v1, v9, v10
	v_fma_f16 v10, -v1, v9, v10
	s_delay_alu instid0(VALU_DEP_3) | instskip(SKIP_1) | instid1(VALU_DEP_4)
	v_fma_f16 v11, v5, v9, v7
	v_fma_f16 v7, v5, v9, -v7
	v_fma_f16 v8, -v12, v5, v8
	s_delay_alu instid0(VALU_DEP_4) | instskip(SKIP_4) | instid1(VALU_DEP_2)
	v_fmac_f16_e32 v10, v12, v5
	s_wait_loadcnt 0x1
	v_lshrrev_b32_e32 v9, 16, v13
	v_fmac_f16_e32 v11, v1, v12
	v_fmac_f16_e32 v7, v1, v12
	v_pack_b32_f16 v1, v8, v11
	s_delay_alu instid0(VALU_DEP_2)
	v_pack_b32_f16 v5, v10, v7
	ds_store_b32 v18, v1 offset:2500
	ds_store_b32 v6, v5 offset:5500
	ds_load_b32 v1, v18 offset:3000
	ds_load_b32 v5, v6 offset:5000
	;; [unrolled: 28-line block ×3, first 2 shown]
	v_add_nc_u32_e32 v11, 0x200, v18
	s_wait_dscnt 0x1
	v_lshrrev_b32_e32 v7, 16, v1
	s_wait_dscnt 0x0
	v_lshrrev_b32_e32 v8, 16, v5
	v_add_f16_e32 v10, v1, v5
	v_sub_f16_e32 v1, v1, v5
	s_delay_alu instid0(VALU_DEP_3) | instskip(SKIP_1) | instid1(VALU_DEP_3)
	v_add_f16_e32 v5, v8, v7
	v_sub_f16_e32 v7, v7, v8
	v_fma_f16 v8, v1, v9, v10
	v_fma_f16 v10, -v1, v9, v10
	s_delay_alu instid0(VALU_DEP_3) | instskip(SKIP_1) | instid1(VALU_DEP_4)
	v_fma_f16 v12, v5, v9, v7
	v_fma_f16 v7, v5, v9, -v7
	v_fma_f16 v8, -v4, v5, v8
	s_delay_alu instid0(VALU_DEP_4)
	v_fmac_f16_e32 v10, v4, v5
	v_add_nc_u32_e32 v9, 0xa00, v18
	v_fmac_f16_e32 v12, v1, v4
	v_fmac_f16_e32 v7, v1, v4
	v_add_nc_u32_e32 v1, 0x1000, v18
	v_add_nc_u32_e32 v4, 0x1600, v18
	s_delay_alu instid0(VALU_DEP_4) | instskip(NEXT) | instid1(VALU_DEP_4)
	v_pack_b32_f16 v5, v8, v12
	v_pack_b32_f16 v7, v10, v7
	v_add_nc_u32_e32 v8, 0xc00, v18
	ds_store_b32 v18, v5 offset:3500
	ds_store_b32 v6, v7 offset:4500
	v_add_nc_u32_e32 v7, 0x1200, v18
	v_add_nc_u32_e32 v10, 0x1800, v18
	global_wb scope:SCOPE_SE
	s_wait_dscnt 0x0
	s_barrier_signal -1
	s_barrier_wait -1
	global_inv scope:SCOPE_SE
	global_wb scope:SCOPE_SE
	s_barrier_signal -1
	s_barrier_wait -1
	global_inv scope:SCOPE_SE
	ds_load_2addr_b32 v[5:6], v11 offset0:122 offset1:247
	ds_load_2addr_b32 v[11:12], v9 offset0:10 offset1:135
	;; [unrolled: 1-line block ×5, first 2 shown]
	ds_load_2addr_b32 v[21:22], v18 offset1:125
	ds_load_2addr_b32 v[23:24], v23 offset0:16 offset1:141
	ds_load_2addr_b32 v[25:26], v8 offset0:32 offset1:157
	;; [unrolled: 1-line block ×4, first 2 shown]
	v_add_nc_u32_e32 v4, v18, v17
	global_wb scope:SCOPE_SE
	s_wait_dscnt 0x0
	s_barrier_signal -1
	s_barrier_wait -1
	global_inv scope:SCOPE_SE
	v_add_nc_u32_e32 v9, 0x9cc, v4
	v_add_nc_u32_e32 v7, 0x9c4, v4
	;; [unrolled: 1-line block ×4, first 2 shown]
	v_pk_add_f16 v32, v6, v12
	v_pk_add_f16 v36, v14, v12 neg_lo:[0,1] neg_hi:[0,1]
	v_pk_add_f16 v33, v12, v16 neg_lo:[0,1] neg_hi:[0,1]
	;; [unrolled: 1-line block ×3, first 2 shown]
	v_pk_add_f16 v35, v12, v16
	v_pk_add_f16 v37, v20, v16 neg_lo:[0,1] neg_hi:[0,1]
	v_pk_add_f16 v38, v14, v20
	v_pk_add_f16 v40, v21, v23
	v_pk_add_f16 v41, v25, v27
	v_pk_add_f16 v42, v23, v29 neg_lo:[0,1] neg_hi:[0,1]
	v_pk_add_f16 v43, v25, v27 neg_lo:[0,1] neg_hi:[0,1]
	v_pk_add_f16 v44, v23, v25 neg_lo:[0,1] neg_hi:[0,1]
	v_pk_add_f16 v46, v23, v29
	v_pk_add_f16 v23, v25, v23 neg_lo:[0,1] neg_hi:[0,1]
	v_pk_add_f16 v47, v27, v29 neg_lo:[0,1] neg_hi:[0,1]
	;; [unrolled: 1-line block ×5, first 2 shown]
	v_pk_add_f16 v48, v22, v24
	v_pk_add_f16 v49, v26, v28
	v_pk_add_f16 v50, v24, v30 neg_lo:[0,1] neg_hi:[0,1]
	v_pk_add_f16 v51, v26, v28 neg_lo:[0,1] neg_hi:[0,1]
	v_pk_add_f16 v54, v24, v30
	v_pk_add_f16 v52, v24, v26 neg_lo:[0,1] neg_hi:[0,1]
	v_pk_add_f16 v53, v30, v28 neg_lo:[0,1] neg_hi:[0,1]
	v_pk_add_f16 v56, v5, v11
	v_pk_add_f16 v57, v13, v19
	v_pk_add_f16 v58, v11, v15 neg_lo:[0,1] neg_hi:[0,1]
	v_pk_add_f16 v59, v13, v19 neg_lo:[0,1] neg_hi:[0,1]
	v_pk_add_f16 v62, v11, v15
	v_pk_add_f16 v14, v32, v14
	v_pk_fma_f16 v32, v35, 0.5, v6 op_sel_hi:[1,0,1] neg_lo:[1,0,0] neg_hi:[1,0,0]
	v_pk_mul_f16 v35, 0x3b9c, v34 op_sel_hi:[0,1]
	v_pk_mul_f16 v64, 0x38b4, v33 op_sel_hi:[0,1]
	v_pk_add_f16 v36, v36, v37
	v_pk_fma_f16 v6, v38, 0.5, v6 op_sel_hi:[1,0,1] neg_lo:[1,0,0] neg_hi:[1,0,0]
	v_pk_mul_f16 v33, 0x3b9c, v33 op_sel_hi:[0,1]
	v_pk_add_f16 v25, v40, v25
	v_pk_fma_f16 v37, v41, 0.5, v21 op_sel_hi:[1,0,1] neg_lo:[1,0,0] neg_hi:[1,0,0]
	v_pk_mul_f16 v38, 0x3b9c, v42 op_sel_hi:[0,1]
	v_pk_fma_f16 v21, v46, 0.5, v21 op_sel_hi:[1,0,1] neg_lo:[1,0,0] neg_hi:[1,0,0]
	v_pk_add_f16 v41, v23, v47
	v_pk_mul_f16 v23, 0x3b9c, v43 op_sel_hi:[0,1]
	v_pk_add_f16 v24, v26, v24 neg_lo:[0,1] neg_hi:[0,1]
	v_pk_add_f16 v12, v12, v39
	v_pk_mul_f16 v39, 0x38b4, v43 op_sel_hi:[0,1]
	v_pk_add_f16 v40, v44, v45
	v_pk_add_f16 v26, v48, v26
	v_pk_fma_f16 v43, v49, 0.5, v22 op_sel_hi:[1,0,1] neg_lo:[1,0,0] neg_hi:[1,0,0]
	v_pk_mul_f16 v44, 0x3b9c, v50 op_sel_hi:[0,1]
	v_pk_fma_f16 v22, v54, 0.5, v22 op_sel_hi:[1,0,1] neg_lo:[1,0,0] neg_hi:[1,0,0]
	v_pk_mul_f16 v47, 0x3b9c, v51 op_sel_hi:[0,1]
	v_pk_add_f16 v60, v11, v13 neg_lo:[0,1] neg_hi:[0,1]
	v_pk_add_f16 v11, v13, v11 neg_lo:[0,1] neg_hi:[0,1]
	v_pk_mul_f16 v34, 0x38b4, v34 op_sel_hi:[0,1]
	v_pk_add_f16 v46, v52, v53
	v_pk_mul_f16 v48, 0x38b4, v50 op_sel_hi:[0,1]
	v_pk_add_f16 v13, v56, v13
	v_pk_fma_f16 v49, v57, 0.5, v5 op_sel_hi:[1,0,1] neg_lo:[1,0,0] neg_hi:[1,0,0]
	v_pk_mul_f16 v50, 0x3b9c, v58 op_sel_hi:[0,1]
	v_pk_fma_f16 v5, v62, 0.5, v5 op_sel_hi:[1,0,1] neg_lo:[1,0,0] neg_hi:[1,0,0]
	v_pk_mul_f16 v53, 0x3b9c, v59 op_sel_hi:[0,1]
	v_pk_add_f16 v14, v14, v20
	v_pk_add_f16 v20, v32, v35 op_sel:[0,1] op_sel_hi:[1,0] neg_lo:[0,1] neg_hi:[0,1]
	v_pk_add_f16 v32, v35, v32 op_sel:[1,0] op_sel_hi:[0,1]
	v_pk_add_f16 v35, v6, v33 op_sel:[0,1] op_sel_hi:[1,0] neg_lo:[0,1] neg_hi:[0,1]
	v_pk_add_f16 v6, v6, v33 op_sel:[0,1] op_sel_hi:[1,0]
	v_pk_add_f16 v25, v25, v27
	v_pk_add_f16 v27, v37, v38 op_sel:[0,1] op_sel_hi:[1,0]
	v_pk_add_f16 v33, v37, v38 op_sel:[0,1] op_sel_hi:[1,0] neg_lo:[0,1] neg_hi:[0,1]
	v_pk_mul_f16 v42, 0x38b4, v42 op_sel_hi:[0,1]
	v_pk_add_f16 v37, v21, v23 op_sel:[0,1] op_sel_hi:[1,0] neg_lo:[0,1] neg_hi:[0,1]
	v_pk_add_f16 v23, v21, v23 op_sel:[0,1] op_sel_hi:[1,0]
	v_pk_add_f16 v55, v28, v30 neg_lo:[0,1] neg_hi:[0,1]
	v_pk_mul_f16 v45, 0x38b4, v51 op_sel_hi:[0,1]
	v_pk_add_f16 v26, v26, v28
	v_pk_add_f16 v28, v43, v44 op_sel:[0,1] op_sel_hi:[1,0]
	v_pk_add_f16 v38, v43, v44 op_sel:[0,1] op_sel_hi:[1,0] neg_lo:[0,1] neg_hi:[0,1]
	v_pk_add_f16 v43, v22, v47 op_sel:[0,1] op_sel_hi:[1,0] neg_lo:[0,1] neg_hi:[0,1]
	v_pk_add_f16 v22, v22, v47 op_sel:[0,1] op_sel_hi:[1,0]
	v_pk_add_f16 v61, v15, v19 neg_lo:[0,1] neg_hi:[0,1]
	v_pk_add_f16 v63, v19, v15 neg_lo:[0,1] neg_hi:[0,1]
	v_pk_mul_f16 v51, 0x38b4, v59 op_sel_hi:[0,1]
	v_pk_mul_f16 v54, 0x38b4, v58 op_sel_hi:[0,1]
	v_pk_add_f16 v13, v13, v19
	v_pk_add_f16 v19, v49, v50 op_sel:[0,1] op_sel_hi:[1,0]
	v_pk_add_f16 v44, v49, v50 op_sel:[0,1] op_sel_hi:[1,0] neg_lo:[0,1] neg_hi:[0,1]
	v_pk_add_f16 v47, v5, v53 op_sel:[0,1] op_sel_hi:[1,0] neg_lo:[0,1] neg_hi:[0,1]
	v_pk_add_f16 v5, v5, v53 op_sel:[0,1] op_sel_hi:[1,0]
	v_pk_add_f16 v21, v14, v16
	v_pk_add_f16 v14, v64, v20 op_sel:[1,0] op_sel_hi:[0,1]
	v_pk_add_f16 v16, v32, v64 op_sel:[0,1] op_sel_hi:[1,0] neg_lo:[0,1] neg_hi:[0,1]
	v_pk_add_f16 v6, v6, v34 op_sel:[0,1] op_sel_hi:[1,0]
	v_pk_add_f16 v20, v35, v34 op_sel:[0,1] op_sel_hi:[1,0] neg_lo:[0,1] neg_hi:[0,1]
	v_pk_add_f16 v29, v25, v29
	v_pk_add_f16 v25, v27, v39 op_sel:[0,1] op_sel_hi:[1,0]
	v_pk_add_f16 v27, v33, v39 op_sel:[0,1] op_sel_hi:[1,0] neg_lo:[0,1] neg_hi:[0,1]
	v_pk_add_f16 v32, v37, v42 op_sel:[0,1] op_sel_hi:[1,0]
	v_pk_add_f16 v33, v23, v42 op_sel:[0,1] op_sel_hi:[1,0] neg_lo:[0,1] neg_hi:[0,1]
	;; [unrolled: 5-line block ×4, first 2 shown]
	v_pk_fma_f16 v22, 0x34f2, v36, v14 op_sel_hi:[0,1,1]
	v_bfi_b32 v14, 0xffff, v6, v20
	v_bfi_b32 v6, 0xffff, v20, v6
	v_pk_fma_f16 v23, 0x34f2, v36, v16 op_sel_hi:[0,1,1]
	v_bfi_b32 v16, 0xffff, v25, v27
	v_bfi_b32 v20, 0xffff, v32, v33
	;; [unrolled: 1-line block ×6, first 2 shown]
	v_pk_add_f16 v24, v24, v55
	v_bfi_b32 v38, 0xffff, v34, v35
	v_bfi_b32 v34, 0xffff, v35, v34
	v_pk_add_f16 v52, v60, v61
	v_pk_add_f16 v11, v11, v63
	v_bfi_b32 v35, 0xffff, v15, v19
	v_bfi_b32 v39, 0xffff, v37, v5
	;; [unrolled: 1-line block ×4, first 2 shown]
	v_pk_fma_f16 v27, 0x34f2, v12, v14 op_sel_hi:[0,1,1]
	v_pk_fma_f16 v25, 0x34f2, v12, v6 op_sel_hi:[0,1,1]
	v_lshrrev_b32_e32 v26, 16, v22
	v_pk_fma_f16 v6, 0x34f2, v40, v16 op_sel_hi:[0,1,1]
	v_pk_fma_f16 v12, 0x34f2, v41, v20 op_sel_hi:[0,1,1]
	;; [unrolled: 1-line block ×12, first 2 shown]
	ds_store_2addr_b32 v4, v29, v6 offset1:1
	ds_store_2addr_b32 v4, v12, v14 offset0:2 offset1:3
	ds_store_b32 v4, v16 offset:16
	ds_store_b32 v4, v28 offset:2516
	ds_store_2addr_b32 v9, v20, v24 offset1:1
	ds_store_2addr_b32 v17, v13, v32 offset1:1
	;; [unrolled: 1-line block ×4, first 2 shown]
	ds_store_b32 v4, v11 offset:5016
	s_and_saveexec_b32 s1, s0
	s_cbranch_execz .LBB0_19
; %bb.18:
	v_add_nc_u32_e32 v5, 0x1d54, v4
	v_bfi_b32 v6, 0xffff, v22, v23
	v_perm_b32 v7, v26, v23, 0x5040100
	v_add_nc_u32_e32 v9, 0x1d4c, v4
	ds_store_2addr_b32 v5, v6, v7 offset1:1
	ds_store_2addr_b32 v9, v21, v27 offset1:1
	ds_store_b32 v4, v25 offset:7516
.LBB0_19:
	s_wait_alu 0xfffe
	s_or_b32 exec_lo, exec_lo, s1
	v_add_nc_u32_e32 v4, 0x300, v18
	v_add_nc_u32_e32 v11, 0x800, v18
	v_add_nc_u32_e32 v19, 0x1400, v18
	global_wb scope:SCOPE_SE
	s_wait_dscnt 0x0
	s_barrier_signal -1
	s_barrier_wait -1
	global_inv scope:SCOPE_SE
	ds_load_2addr_b32 v[6:7], v18 offset1:125
	ds_load_2addr_b32 v[4:5], v4 offset0:58 offset1:208
	ds_load_2addr_b32 v[16:17], v8 offset0:32 offset1:157
	;; [unrolled: 1-line block ×6, first 2 shown]
	ds_load_b32 v28, v18 offset:7400
	v_lshrrev_b32_e32 v30, 16, v25
	s_and_saveexec_b32 s1, s0
	s_cbranch_execz .LBB0_21
; %bb.20:
	ds_load_b32 v1, v18 offset:6300
	ds_load_b32 v25, v18 offset:7900
	;; [unrolled: 1-line block ×5, first 2 shown]
	s_wait_dscnt 0x4
	v_lshrrev_b32_e32 v26, 16, v1
	s_wait_dscnt 0x3
	v_lshrrev_b32_e32 v30, 16, v25
	s_wait_dscnt 0x2
	v_bfi_b32 v23, 0xffff, v1, v22
.LBB0_21:
	s_wait_alu 0xfffe
	s_or_b32 exec_lo, exec_lo, s1
	v_and_b32_e32 v31, 0xff, v0
	v_add_nc_u16 v29, v0, 0x7d
	v_add_nc_u32_e32 v24, 0xfa, v0
	s_wait_dscnt 0x4
	v_lshrrev_b32_e32 v67, 16, v9
	v_lshrrev_b32_e32 v65, 16, v5
	v_mul_lo_u16 v1, 0xcd, v31
	v_and_b32_e32 v34, 0xff, v29
	v_and_b32_e32 v33, 0xffff, v24
	v_lshrrev_b32_e32 v66, 16, v16
	s_wait_dscnt 0x3
	v_lshrrev_b32_e32 v68, 16, v14
	v_lshrrev_b16 v20, 10, v1
	v_add_nc_u32_e32 v1, 0x177, v0
	v_mul_lo_u16 v32, 0xcd, v34
	v_mul_u32_u24_e32 v36, 0xcccd, v33
	v_lshrrev_b32_e32 v70, 16, v17
	v_mul_lo_u16 v19, v20, 5
	v_and_b32_e32 v72, 0xffff, v20
	v_lshrrev_b16 v32, 10, v32
	v_lshrrev_b32_e32 v57, 18, v36
	v_lshrrev_b32_e32 v60, 16, v15
	v_sub_nc_u16 v35, v0, v19
	v_and_b32_e32 v19, 0xffff, v1
	v_mul_lo_u16 v36, v32, 5
	v_mul_lo_u16 v38, v57, 5
	v_and_b32_e32 v32, 0xffff, v32
	v_and_b32_e32 v56, 0xff, v35
	v_mul_u32_u24_e32 v35, 0xcccd, v19
	v_sub_nc_u16 v36, v29, v36
	v_sub_nc_u16 v38, v24, v38
	v_mul_u32_u24_e32 v72, 0x64, v72
	v_lshlrev_b32_e32 v37, 4, v56
	v_lshrrev_b32_e32 v35, 18, v35
	v_and_b32_e32 v58, 0xff, v36
	v_and_b32_e32 v59, 0xffff, v38
	v_lshlrev_b32_e32 v56, 2, v56
	global_load_b128 v[40:43], v37, s[4:5]
	v_mul_lo_u16 v37, v35, 5
	v_mul_u32_u24_e32 v57, 0x64, v57
	v_lshlrev_b32_e32 v38, 4, v59
	v_mul_u32_u24_e32 v32, 0x64, v32
	v_lshlrev_b32_e32 v59, 2, v59
	v_sub_nc_u16 v36, v1, v37
	v_lshlrev_b32_e32 v37, 4, v58
	v_lshlrev_b32_e32 v58, 2, v58
	v_add3_u32 v56, 0, v72, v56
	v_add3_u32 v57, 0, v57, v59
	v_and_b32_e32 v36, 0xffff, v36
	global_load_b128 v[44:47], v37, s[4:5]
	v_add3_u32 v58, 0, v32, v58
	s_wait_dscnt 0x2
	v_lshrrev_b32_e32 v61, 16, v13
	v_lshrrev_b32_e32 v62, 16, v8
	v_lshlrev_b32_e32 v37, 4, v36
	s_wait_dscnt 0x1
	v_lshrrev_b32_e32 v63, 16, v11
	s_wait_dscnt 0x0
	v_lshrrev_b32_e32 v64, 16, v28
	s_clause 0x1
	global_load_b128 v[48:51], v38, s[4:5]
	global_load_b128 v[52:55], v37, s[4:5]
	v_lshrrev_b32_e32 v69, 16, v12
	v_lshrrev_b32_e32 v71, 16, v10
	;; [unrolled: 1-line block ×8, first 2 shown]
	global_wb scope:SCOPE_SE
	s_wait_loadcnt 0x0
	s_barrier_signal -1
	s_barrier_wait -1
	global_inv scope:SCOPE_SE
	v_lshrrev_b32_e32 v72, 16, v42
	v_lshrrev_b32_e32 v32, 16, v40
	;; [unrolled: 1-line block ×4, first 2 shown]
	s_delay_alu instid0(VALU_DEP_4)
	v_mul_f16_e32 v78, v72, v67
	v_mul_f16_e32 v72, v72, v9
	;; [unrolled: 1-line block ×7, first 2 shown]
	v_lshrrev_b32_e32 v81, 16, v45
	v_mul_f16_e32 v75, v75, v14
	v_lshrrev_b32_e32 v80, 16, v44
	v_lshrrev_b32_e32 v82, 16, v46
	;; [unrolled: 1-line block ×3, first 2 shown]
	v_fma_f16 v9, v42, v9, -v78
	v_fmac_f16_e32 v72, v42, v67
	v_lshrrev_b32_e32 v84, 16, v48
	v_lshrrev_b32_e32 v85, 16, v49
	;; [unrolled: 1-line block ×8, first 2 shown]
	v_mul_f16_e32 v42, v81, v70
	v_fma_f16 v5, v40, v5, -v76
	v_fmac_f16_e32 v32, v40, v65
	v_fma_f16 v16, v41, v16, -v77
	v_fmac_f16_e32 v59, v41, v66
	;; [unrolled: 2-line block ×3, first 2 shown]
	v_mul_f16_e32 v40, v80, v69
	v_mul_f16_e32 v41, v80, v12
	v_mul_f16_e32 v43, v81, v17
	v_mul_f16_e32 v65, v82, v71
	v_mul_f16_e32 v66, v82, v10
	v_mul_f16_e32 v67, v60, v83
	v_mul_f16_e32 v68, v15, v83
	v_mul_f16_e32 v76, v61, v84
	v_mul_f16_e32 v77, v13, v84
	v_mul_f16_e32 v78, v62, v85
	v_mul_f16_e32 v79, v8, v85
	v_mul_f16_e32 v80, v63, v86
	v_mul_f16_e32 v81, v11, v86
	v_mul_f16_e32 v82, v64, v87
	v_mul_f16_e32 v83, v28, v87
	v_mul_f16_e32 v84, v73, v88
	v_mul_f16_e32 v85, v27, v88
	v_mul_f16_e32 v86, v74, v89
	v_mul_f16_e32 v87, v22, v89
	v_fma_f16 v17, v45, v17, -v42
	v_mul_f16_e32 v42, v26, v90
	v_mul_f16_e32 v88, v23, v90
	;; [unrolled: 1-line block ×4, first 2 shown]
	v_fma_f16 v12, v44, v12, -v40
	v_fmac_f16_e32 v41, v44, v69
	v_fmac_f16_e32 v43, v45, v70
	v_fma_f16 v10, v46, v10, -v65
	v_fmac_f16_e32 v66, v46, v71
	v_fma_f16 v15, v15, v47, -v67
	v_fmac_f16_e32 v68, v60, v47
	v_fma_f16 v13, v13, v48, -v76
	v_fmac_f16_e32 v77, v61, v48
	v_fma_f16 v8, v8, v49, -v78
	v_fmac_f16_e32 v79, v62, v49
	v_fma_f16 v11, v11, v50, -v80
	v_fmac_f16_e32 v81, v63, v50
	v_fma_f16 v40, v28, v51, -v82
	v_fma_f16 v27, v27, v52, -v84
	v_fmac_f16_e32 v85, v73, v52
	v_fma_f16 v22, v22, v53, -v86
	v_fmac_f16_e32 v87, v74, v53
	;; [unrolled: 2-line block ×4, first 2 shown]
	v_add_f16_e32 v25, v6, v5
	v_add_f16_e32 v28, v16, v9
	v_sub_f16_e32 v30, v32, v75
	v_sub_f16_e32 v44, v5, v16
	;; [unrolled: 1-line block ×3, first 2 shown]
	v_add_f16_e32 v46, v5, v14
	v_sub_f16_e32 v47, v16, v5
	v_sub_f16_e32 v48, v9, v14
	v_add_f16_e32 v49, v39, v32
	v_add_f16_e32 v50, v59, v72
	v_sub_f16_e32 v52, v32, v59
	v_sub_f16_e32 v53, v75, v72
	v_add_f16_e32 v54, v32, v75
	v_sub_f16_e32 v32, v59, v32
	v_sub_f16_e32 v55, v72, v75
	v_fmac_f16_e32 v83, v64, v51
	v_sub_f16_e32 v42, v59, v72
	v_sub_f16_e32 v51, v16, v9
	v_add_f16_e32 v16, v25, v16
	v_fma_f16 v60, -0.5, v28, v6
	v_add_f16_e32 v44, v44, v45
	v_fma_f16 v6, -0.5, v46, v6
	v_add_f16_e32 v45, v47, v48
	v_add_f16_e32 v25, v49, v59
	v_fma_f16 v46, -0.5, v50, v39
	v_add_f16_e32 v47, v52, v53
	v_fmac_f16_e32 v39, -0.5, v54
	v_add_f16_e32 v48, v32, v55
	v_add_f16_e32 v28, v7, v12
	;; [unrolled: 1-line block ×3, first 2 shown]
	v_sub_f16_e32 v49, v41, v68
	v_sub_f16_e32 v52, v12, v17
	;; [unrolled: 1-line block ×3, first 2 shown]
	v_add_f16_e32 v54, v12, v15
	v_sub_f16_e32 v55, v17, v12
	v_sub_f16_e32 v59, v10, v15
	v_add_f16_e32 v61, v38, v41
	v_sub_f16_e32 v64, v41, v43
	v_add_f16_e32 v67, v41, v68
	v_sub_f16_e32 v41, v43, v41
	v_sub_f16_e32 v69, v66, v68
	v_add_f16_e32 v70, v4, v13
	v_add_f16_e32 v71, v8, v11
	v_sub_f16_e32 v76, v13, v8
	v_sub_f16_e32 v78, v40, v11
	v_add_f16_e32 v80, v13, v40
	v_sub_f16_e32 v82, v8, v13
	v_sub_f16_e32 v84, v11, v40
	;; [unrolled: 3-line block ×3, first 2 shown]
	v_sub_f16_e32 v63, v17, v10
	v_sub_f16_e32 v73, v77, v83
	v_add_f16_e32 v86, v37, v77
	v_add_f16_e32 v89, v79, v81
	v_sub_f16_e32 v91, v8, v11
	v_add_f16_e32 v9, v16, v9
	v_sub_f16_e32 v16, v77, v79
	;; [unrolled: 2-line block ×3, first 2 shown]
	v_add_f16_e32 v17, v28, v17
	v_add_f16_e32 v28, v77, v83
	v_sub_f16_e32 v77, v79, v77
	v_add_f16_e32 v52, v52, v53
	v_sub_f16_e32 v53, v81, v83
	v_fma_f16 v92, -0.5, v32, v7
	v_fmac_f16_e32 v7, -0.5, v54
	v_add_f16_e32 v32, v21, v27
	v_add_f16_e32 v54, v55, v59
	;; [unrolled: 1-line block ×7, first 2 shown]
	v_sub_f16_e32 v76, v22, v27
	v_fma_f16 v71, -0.5, v71, v4
	v_fmac_f16_e32 v4, -0.5, v80
	v_sub_f16_e32 v78, v23, v26
	v_add_f16_e32 v80, v82, v84
	v_add_f16_e32 v82, v20, v85
	v_sub_f16_e32 v50, v43, v66
	v_add_f16_e32 v43, v61, v43
	v_add_f16_e32 v61, v64, v65
	v_fma_f16 v62, -0.5, v62, v38
	v_fmac_f16_e32 v38, -0.5, v67
	v_sub_f16_e32 v65, v27, v22
	v_sub_f16_e32 v67, v26, v23
	;; [unrolled: 1-line block ×5, first 2 shown]
	v_add_f16_e32 v79, v86, v79
	v_add_f16_e32 v84, v87, v88
	v_sub_f16_e32 v86, v27, v26
	v_add_f16_e32 v16, v16, v25
	v_sub_f16_e32 v93, v22, v23
	v_fma_f16 v89, -0.5, v89, v37
	v_fmac_f16_e32 v37, -0.5, v28
	v_sub_f16_e32 v25, v85, v87
	v_add_f16_e32 v53, v77, v53
	v_sub_f16_e32 v27, v90, v88
	v_add_f16_e32 v28, v32, v22
	v_add_f16_e32 v32, v85, v90
	v_sub_f16_e32 v77, v87, v85
	v_fma_f16 v22, -0.5, v55, v21
	v_fma_f16 v21, -0.5, v69, v21
	v_fmamk_f16 v55, v30, 0x3b9c, v60
	v_fmac_f16_e32 v60, 0xbb9c, v30
	v_add_f16_e32 v69, v76, v78
	v_add_f16_e32 v78, v82, v87
	v_fmamk_f16 v82, v5, 0xbb9c, v46
	v_fmamk_f16 v87, v51, 0x3b9c, v39
	v_fmac_f16_e32 v39, 0xbb9c, v51
	v_fmamk_f16 v76, v42, 0xbb9c, v6
	v_fmac_f16_e32 v6, 0x3b9c, v42
	v_fmac_f16_e32 v46, 0x3b9c, v5
	v_sub_f16_e32 v13, v13, v40
	v_add_f16_e32 v65, v65, v67
	v_sub_f16_e32 v67, v88, v90
	v_sub_f16_e32 v59, v85, v90
	v_add_f16_e32 v85, v25, v27
	v_fma_f16 v25, -0.5, v84, v20
	v_fmac_f16_e32 v20, -0.5, v32
	v_fmac_f16_e32 v55, 0x38b4, v42
	v_fmac_f16_e32 v60, 0xb8b4, v42
	;; [unrolled: 1-line block ×5, first 2 shown]
	v_add_f16_e32 v5, v17, v10
	v_fmamk_f16 v10, v49, 0x3b9c, v92
	v_add_f16_e32 v42, v43, v66
	v_fmamk_f16 v43, v12, 0xbb9c, v62
	v_fmac_f16_e32 v76, 0x38b4, v30
	v_fmac_f16_e32 v6, 0xb8b4, v30
	v_fmac_f16_e32 v46, 0x38b4, v51
	v_fmamk_f16 v17, v50, 0xbb9c, v7
	v_fmac_f16_e32 v7, 0x3b9c, v50
	v_fmamk_f16 v51, v63, 0x3b9c, v38
	v_fmac_f16_e32 v38, 0xbb9c, v63
	v_add_f16_e32 v9, v9, v14
	v_add_f16_e32 v14, v72, v75
	v_fmac_f16_e32 v92, 0xbb9c, v49
	v_fmac_f16_e32 v62, 0x3b9c, v12
	v_fmamk_f16 v75, v13, 0xbb9c, v89
	v_fmac_f16_e32 v89, 0x3b9c, v13
	v_add_f16_e32 v8, v8, v11
	v_fmamk_f16 v11, v73, 0x3b9c, v71
	v_add_f16_e32 v67, v77, v67
	v_fmamk_f16 v66, v74, 0xbb9c, v4
	v_fmac_f16_e32 v4, 0x3b9c, v74
	v_fmamk_f16 v77, v91, 0x3b9c, v37
	v_fmac_f16_e32 v37, 0xbb9c, v91
	v_fmac_f16_e32 v71, 0xbb9c, v73
	v_add_f16_e32 v23, v28, v23
	v_fmamk_f16 v27, v59, 0x3b9c, v22
	v_fmac_f16_e32 v22, 0xbb9c, v59
	v_fmamk_f16 v28, v64, 0xbb9c, v21
	v_fmac_f16_e32 v21, 0x3b9c, v64
	;; [unrolled: 2-line block ×4, first 2 shown]
	v_fmac_f16_e32 v55, 0x34f2, v44
	v_fmac_f16_e32 v82, 0x34f2, v47
	;; [unrolled: 1-line block ×18, first 2 shown]
	v_add_f16_e32 v72, v79, v81
	v_fmac_f16_e32 v11, 0x38b4, v74
	v_fmac_f16_e32 v66, 0x38b4, v73
	;; [unrolled: 1-line block ×5, first 2 shown]
	v_add_f16_e32 v78, v78, v88
	v_add_f16_e32 v5, v5, v15
	;; [unrolled: 1-line block ×3, first 2 shown]
	v_fmac_f16_e32 v71, 0xb8b4, v74
	v_fmac_f16_e32 v27, 0x38b4, v64
	;; [unrolled: 1-line block ×9, first 2 shown]
	v_pack_b32_f16 v9, v9, v14
	v_fmac_f16_e32 v10, 0x34f2, v52
	v_fmac_f16_e32 v43, 0x34f2, v61
	v_pack_b32_f16 v13, v55, v82
	v_fmac_f16_e32 v17, 0x34f2, v54
	v_fmac_f16_e32 v7, 0x34f2, v54
	;; [unrolled: 1-line block ×4, first 2 shown]
	v_pack_b32_f16 v14, v76, v87
	v_pack_b32_f16 v6, v6, v39
	v_fmac_f16_e32 v92, 0x34f2, v52
	v_fmac_f16_e32 v62, 0x34f2, v61
	;; [unrolled: 1-line block ×4, first 2 shown]
	v_pack_b32_f16 v16, v60, v46
	v_add_f16_e32 v8, v8, v40
	v_add_f16_e32 v12, v72, v83
	v_fmac_f16_e32 v11, 0x34f2, v70
	v_fmac_f16_e32 v66, 0x34f2, v80
	;; [unrolled: 1-line block ×5, first 2 shown]
	v_add_f16_e32 v23, v23, v26
	v_add_f16_e32 v26, v78, v90
	v_fmac_f16_e32 v71, 0x34f2, v70
	v_fmac_f16_e32 v27, 0x34f2, v65
	;; [unrolled: 1-line block ×9, first 2 shown]
	v_pack_b32_f16 v5, v5, v15
	ds_store_2addr_b32 v56, v9, v13 offset1:5
	ds_store_2addr_b32 v56, v14, v6 offset0:10 offset1:15
	ds_store_b32 v56, v16 offset:80
	v_pack_b32_f16 v6, v10, v43
	v_pack_b32_f16 v9, v17, v51
	v_pack_b32_f16 v7, v7, v38
	v_pack_b32_f16 v10, v92, v62
	v_pack_b32_f16 v8, v8, v12
	v_pack_b32_f16 v11, v11, v75
	v_pack_b32_f16 v12, v66, v77
	v_pack_b32_f16 v4, v4, v37
	v_pack_b32_f16 v13, v71, v89
	ds_store_2addr_b32 v58, v5, v6 offset1:5
	ds_store_2addr_b32 v58, v9, v7 offset0:10 offset1:15
	ds_store_b32 v58, v10 offset:80
	ds_store_2addr_b32 v57, v8, v11 offset1:5
	ds_store_2addr_b32 v57, v12, v4 offset0:10 offset1:15
	ds_store_b32 v57, v13 offset:80
	s_and_saveexec_b32 s1, s0
	s_cbranch_execz .LBB0_23
; %bb.22:
	v_mul_lo_u16 v4, v35, 25
	v_lshlrev_b32_e32 v5, 2, v36
	v_perm_b32 v6, v26, v23, 0x5040100
	v_perm_b32 v7, v30, v27, 0x5040100
	;; [unrolled: 1-line block ×3, first 2 shown]
	v_and_b32_e32 v4, 0xffff, v4
	v_perm_b32 v9, v25, v22, 0x5040100
	s_delay_alu instid0(VALU_DEP_2) | instskip(NEXT) | instid1(VALU_DEP_1)
	v_lshlrev_b32_e32 v4, 2, v4
	v_add3_u32 v4, 0, v5, v4
	v_perm_b32 v5, v20, v21, 0x5040100
	ds_store_2addr_b32 v4, v6, v7 offset1:5
	ds_store_2addr_b32 v4, v8, v5 offset0:10 offset1:15
	ds_store_b32 v4, v9 offset:80
.LBB0_23:
	s_wait_alu 0xfffe
	s_or_b32 exec_lo, exec_lo, s1
	v_add_nc_u32_e32 v8, 0xc00, v18
	v_add_nc_u32_e32 v4, 0x300, v18
	;; [unrolled: 1-line block ×6, first 2 shown]
	global_wb scope:SCOPE_SE
	s_wait_dscnt 0x0
	s_barrier_signal -1
	s_barrier_wait -1
	global_inv scope:SCOPE_SE
	ds_load_2addr_b32 v[6:7], v18 offset1:125
	ds_load_2addr_b32 v[4:5], v4 offset0:58 offset1:208
	ds_load_2addr_b32 v[16:17], v8 offset0:32 offset1:157
	;; [unrolled: 1-line block ×6, first 2 shown]
	ds_load_b32 v35, v18 offset:7400
	s_and_saveexec_b32 s1, s0
	s_cbranch_execz .LBB0_25
; %bb.24:
	ds_load_b32 v23, v18 offset:1500
	ds_load_b32 v27, v18 offset:3100
	;; [unrolled: 1-line block ×5, first 2 shown]
	s_wait_dscnt 0x4
	v_lshrrev_b32_e32 v26, 16, v23
	s_wait_dscnt 0x3
	v_lshrrev_b32_e32 v30, 16, v27
	;; [unrolled: 2-line block ×5, first 2 shown]
.LBB0_25:
	s_wait_alu 0xfffe
	s_or_b32 exec_lo, exec_lo, s1
	v_mul_lo_u16 v31, v31, 41
	v_mul_lo_u16 v34, v34, 41
	s_wait_dscnt 0x6
	v_lshrrev_b32_e32 v56, 16, v5
	s_wait_dscnt 0x5
	v_lshrrev_b32_e32 v57, 16, v16
	;; [unrolled: 2-line block ×3, first 2 shown]
	v_lshrrev_b16 v48, 10, v31
	v_lshrrev_b16 v34, 10, v34
	s_wait_dscnt 0x3
	v_lshrrev_b32_e32 v59, 16, v14
	s_wait_dscnt 0x2
	v_lshrrev_b32_e32 v60, 16, v12
	v_lshrrev_b32_e32 v61, 16, v17
	v_mul_lo_u16 v31, v48, 25
	v_mul_lo_u16 v36, v34, 25
	v_and_b32_e32 v48, 0xffff, v48
	v_and_b32_e32 v34, 0xffff, v34
	s_wait_dscnt 0x1
	v_lshrrev_b32_e32 v62, 16, v10
	v_sub_nc_u16 v31, v0, v31
	v_sub_nc_u16 v29, v29, v36
	v_mul_u32_u24_e32 v48, 0x1f4, v48
	v_mul_u32_u24_e32 v34, 0x1f4, v34
	v_lshrrev_b32_e32 v63, 16, v15
	v_and_b32_e32 v49, 0xff, v31
	v_and_b32_e32 v50, 0xff, v29
	v_lshrrev_b32_e32 v52, 16, v13
	v_lshrrev_b32_e32 v53, 16, v8
	;; [unrolled: 1-line block ×3, first 2 shown]
	v_lshlrev_b32_e32 v29, 4, v49
	v_lshlrev_b32_e32 v31, 4, v50
	;; [unrolled: 1-line block ×4, first 2 shown]
	s_wait_dscnt 0x0
	v_lshrrev_b32_e32 v55, 16, v35
	s_clause 0x1
	global_load_b128 v[36:39], v29, s[4:5] offset:80
	global_load_b128 v[40:43], v31, s[4:5] offset:80
	v_mul_u32_u24_e32 v29, 0x47af, v33
	v_add3_u32 v48, 0, v48, v49
	v_add3_u32 v34, 0, v34, v50
	s_delay_alu instid0(VALU_DEP_3) | instskip(NEXT) | instid1(VALU_DEP_1)
	v_lshrrev_b32_e32 v29, 16, v29
	v_sub_nc_u16 v31, v24, v29
	s_delay_alu instid0(VALU_DEP_1) | instskip(NEXT) | instid1(VALU_DEP_1)
	v_lshrrev_b16 v31, 1, v31
	v_add_nc_u16 v29, v31, v29
	v_lshrrev_b32_e32 v31, 16, v6
	s_delay_alu instid0(VALU_DEP_2) | instskip(NEXT) | instid1(VALU_DEP_1)
	v_lshrrev_b16 v33, 4, v29
	v_mul_lo_u16 v29, v33, 25
	v_and_b32_e32 v33, 0xffff, v33
	s_delay_alu instid0(VALU_DEP_2) | instskip(NEXT) | instid1(VALU_DEP_2)
	v_sub_nc_u16 v24, v24, v29
	v_mul_u32_u24_e32 v33, 0x1f4, v33
	v_lshrrev_b32_e32 v29, 16, v7
	s_delay_alu instid0(VALU_DEP_3) | instskip(NEXT) | instid1(VALU_DEP_1)
	v_and_b32_e32 v51, 0xffff, v24
	v_lshlrev_b32_e32 v24, 4, v51
	v_lshlrev_b32_e32 v49, 2, v51
	global_load_b128 v[44:47], v24, s[4:5] offset:80
	v_add3_u32 v33, 0, v33, v49
	v_lshrrev_b32_e32 v24, 16, v4
	global_wb scope:SCOPE_SE
	s_wait_loadcnt 0x0
	s_barrier_signal -1
	s_barrier_wait -1
	global_inv scope:SCOPE_SE
	v_lshrrev_b32_e32 v49, 16, v36
	v_lshrrev_b32_e32 v50, 16, v37
	;; [unrolled: 1-line block ×8, first 2 shown]
	v_mul_f16_e32 v69, v49, v56
	v_mul_f16_e32 v70, v50, v57
	;; [unrolled: 1-line block ×16, first 2 shown]
	v_fma_f16 v5, v36, v5, -v69
	v_fma_f16 v16, v37, v16, -v70
	;; [unrolled: 1-line block ×4, first 2 shown]
	v_fmac_f16_e32 v49, v36, v56
	v_fmac_f16_e32 v50, v37, v57
	;; [unrolled: 1-line block ×4, first 2 shown]
	v_fma_f16 v12, v40, v12, -v73
	v_fmac_f16_e32 v65, v40, v60
	v_fma_f16 v17, v41, v17, -v74
	v_fmac_f16_e32 v66, v41, v61
	;; [unrolled: 2-line block ×4, first 2 shown]
	v_add_f16_e32 v36, v6, v5
	v_add_f16_e32 v37, v16, v9
	;; [unrolled: 1-line block ×3, first 2 shown]
	v_sub_f16_e32 v38, v49, v64
	v_sub_f16_e32 v39, v50, v51
	;; [unrolled: 1-line block ×6, first 2 shown]
	v_add_f16_e32 v57, v31, v49
	v_add_f16_e32 v58, v50, v51
	v_sub_f16_e32 v59, v16, v9
	v_sub_f16_e32 v60, v49, v50
	;; [unrolled: 1-line block ×3, first 2 shown]
	v_add_f16_e32 v62, v49, v64
	v_sub_f16_e32 v49, v50, v49
	v_sub_f16_e32 v63, v51, v64
	v_add_f16_e32 v69, v7, v12
	v_add_f16_e32 v70, v17, v10
	v_sub_f16_e32 v73, v12, v17
	v_sub_f16_e32 v74, v15, v10
	;; [unrolled: 1-line block ×4, first 2 shown]
	v_add_f16_e32 v78, v29, v65
	v_add_f16_e32 v79, v66, v67
	v_add_f16_e32 v83, v65, v68
	v_lshrrev_b32_e32 v85, 16, v44
	v_lshrrev_b32_e32 v86, 16, v45
	;; [unrolled: 1-line block ×4, first 2 shown]
	v_add_f16_e32 v16, v36, v16
	v_fma_f16 v36, -0.5, v37, v6
	v_fma_f16 v6, -0.5, v42, v6
	v_sub_f16_e32 v71, v65, v68
	v_add_f16_e32 v75, v12, v15
	v_sub_f16_e32 v81, v65, v66
	v_sub_f16_e32 v65, v66, v65
	v_sub_f16_e32 v84, v67, v68
	v_sub_f16_e32 v5, v5, v14
	v_sub_f16_e32 v72, v66, v67
	v_sub_f16_e32 v80, v17, v10
	v_add_f16_e32 v37, v40, v41
	v_add_f16_e32 v40, v43, v56
	;; [unrolled: 1-line block ×3, first 2 shown]
	v_fma_f16 v42, -0.5, v58, v31
	v_add_f16_e32 v43, v60, v61
	v_fmac_f16_e32 v31, -0.5, v62
	v_add_f16_e32 v49, v49, v63
	v_add_f16_e32 v17, v69, v17
	v_fma_f16 v50, -0.5, v70, v7
	v_add_f16_e32 v56, v73, v74
	v_add_f16_e32 v57, v76, v77
	;; [unrolled: 1-line block ×3, first 2 shown]
	v_fma_f16 v60, -0.5, v79, v29
	v_fmac_f16_e32 v29, -0.5, v83
	v_mul_f16_e32 v63, v52, v85
	v_mul_f16_e32 v66, v53, v86
	;; [unrolled: 1-line block ×6, first 2 shown]
	v_fmamk_f16 v76, v39, 0xbb9c, v6
	v_fmac_f16_e32 v6, 0x3b9c, v39
	v_fmac_f16_e32 v7, -0.5, v75
	v_add_f16_e32 v62, v65, v84
	v_mul_f16_e32 v65, v13, v85
	v_mul_f16_e32 v75, v35, v88
	v_sub_f16_e32 v12, v12, v15
	v_add_f16_e32 v9, v16, v9
	v_fmamk_f16 v16, v38, 0x3b9c, v36
	v_fmac_f16_e32 v36, 0xbb9c, v38
	v_add_f16_e32 v41, v41, v51
	v_fmamk_f16 v51, v5, 0xbb9c, v42
	v_fmac_f16_e32 v42, 0x3b9c, v5
	v_fmamk_f16 v77, v59, 0x3b9c, v31
	v_fmac_f16_e32 v31, 0xbb9c, v59
	v_add_f16_e32 v10, v17, v10
	v_add_f16_e32 v58, v58, v67
	v_fmamk_f16 v79, v80, 0x3b9c, v29
	v_fmac_f16_e32 v29, 0xbb9c, v80
	v_fma_f16 v13, v13, v44, -v63
	v_fma_f16 v8, v8, v45, -v66
	v_fmac_f16_e32 v69, v53, v45
	v_fma_f16 v11, v11, v46, -v70
	v_fmac_f16_e32 v73, v54, v46
	v_fma_f16 v35, v35, v47, -v74
	v_fmac_f16_e32 v76, 0x38b4, v38
	v_fmac_f16_e32 v6, 0xb8b4, v38
	v_fmac_f16_e32 v65, v52, v44
	;; [unrolled: 1-line block ×3, first 2 shown]
	v_sub_f16_e32 v82, v68, v67
	v_fmamk_f16 v67, v12, 0xbb9c, v60
	v_fmac_f16_e32 v60, 0x3b9c, v12
	v_fmac_f16_e32 v16, 0x38b4, v39
	;; [unrolled: 1-line block ×7, first 2 shown]
	v_add_f16_e32 v5, v10, v15
	v_add_f16_e32 v10, v58, v68
	v_fmac_f16_e32 v79, 0xb8b4, v12
	v_fmac_f16_e32 v29, 0x38b4, v12
	;; [unrolled: 1-line block ×4, first 2 shown]
	v_add_f16_e32 v12, v4, v13
	v_add_f16_e32 v15, v8, v11
	v_sub_f16_e32 v39, v13, v8
	v_sub_f16_e32 v40, v35, v11
	v_add_f16_e32 v46, v69, v73
	v_add_f16_e32 v9, v9, v14
	;; [unrolled: 1-line block ×5, first 2 shown]
	v_fmamk_f16 v17, v71, 0x3b9c, v50
	v_fmac_f16_e32 v16, 0x34f2, v37
	v_fmac_f16_e32 v36, 0x34f2, v37
	;; [unrolled: 1-line block ×4, first 2 shown]
	v_sub_f16_e32 v37, v65, v75
	v_sub_f16_e32 v43, v8, v13
	;; [unrolled: 1-line block ×3, first 2 shown]
	v_add_f16_e32 v45, v24, v65
	v_sub_f16_e32 v13, v13, v35
	v_sub_f16_e32 v47, v8, v11
	v_pack_b32_f16 v5, v5, v10
	v_add_f16_e32 v8, v12, v8
	v_fma_f16 v10, -0.5, v15, v4
	v_add_f16_e32 v12, v39, v40
	v_fma_f16 v39, -0.5, v46, v24
	v_fmac_f16_e32 v31, 0x34f2, v49
	v_sub_f16_e32 v38, v69, v73
	v_fmac_f16_e32 v4, -0.5, v41
	v_fmac_f16_e32 v24, -0.5, v53
	v_add_f16_e32 v61, v81, v82
	v_fmamk_f16 v78, v72, 0xbb9c, v7
	v_fmac_f16_e32 v7, 0x3b9c, v72
	v_fmac_f16_e32 v17, 0x38b4, v72
	;; [unrolled: 1-line block ×5, first 2 shown]
	v_sub_f16_e32 v49, v65, v69
	v_sub_f16_e32 v52, v75, v73
	v_pack_b32_f16 v9, v9, v14
	v_add_f16_e32 v14, v43, v44
	v_add_f16_e32 v15, v45, v69
	;; [unrolled: 1-line block ×3, first 2 shown]
	v_fmamk_f16 v11, v37, 0x3b9c, v10
	v_fmamk_f16 v44, v13, 0xbb9c, v39
	v_sub_f16_e32 v54, v69, v65
	v_sub_f16_e32 v55, v73, v75
	v_pack_b32_f16 v6, v6, v31
	v_pack_b32_f16 v31, v36, v42
	v_fmamk_f16 v42, v38, 0xbb9c, v4
	v_fmac_f16_e32 v4, 0x3b9c, v38
	v_fmamk_f16 v45, v47, 0x3b9c, v24
	v_fmac_f16_e32 v24, 0xbb9c, v47
	v_fmac_f16_e32 v10, 0xbb9c, v37
	;; [unrolled: 1-line block ×9, first 2 shown]
	v_add_f16_e32 v40, v49, v52
	v_pack_b32_f16 v16, v16, v51
	v_add_f16_e32 v15, v15, v73
	v_fmac_f16_e32 v11, 0x38b4, v38
	v_fmac_f16_e32 v44, 0xb8b4, v47
	v_add_f16_e32 v41, v54, v55
	v_pack_b32_f16 v43, v76, v77
	v_fmac_f16_e32 v42, 0x38b4, v37
	v_fmac_f16_e32 v4, 0xb8b4, v37
	;; [unrolled: 1-line block ×10, first 2 shown]
	v_pack_b32_f16 v17, v17, v67
	v_fmac_f16_e32 v50, 0x34f2, v56
	v_fmac_f16_e32 v60, 0x34f2, v61
	ds_store_2addr_b32 v48, v9, v16 offset1:25
	ds_store_2addr_b32 v48, v43, v6 offset0:50 offset1:75
	ds_store_b32 v48, v31 offset:400
	ds_store_2addr_b32 v34, v5, v17 offset1:25
	v_add_f16_e32 v5, v8, v35
	v_add_f16_e32 v6, v15, v75
	v_fmac_f16_e32 v11, 0x34f2, v12
	v_fmac_f16_e32 v44, 0x34f2, v40
	;; [unrolled: 1-line block ×8, first 2 shown]
	v_pack_b32_f16 v36, v78, v79
	v_pack_b32_f16 v7, v7, v29
	;; [unrolled: 1-line block ×8, first 2 shown]
	ds_store_2addr_b32 v34, v36, v7 offset0:50 offset1:75
	ds_store_b32 v34, v29 offset:400
	ds_store_2addr_b32 v33, v5, v6 offset1:25
	ds_store_2addr_b32 v33, v8, v4 offset0:50 offset1:75
	ds_store_b32 v33, v9 offset:400
	s_and_saveexec_b32 s1, s0
	s_cbranch_execz .LBB0_27
; %bb.26:
	v_mul_u32_u24_e32 v4, 0x47af, v19
	s_delay_alu instid0(VALU_DEP_1) | instskip(NEXT) | instid1(VALU_DEP_1)
	v_lshrrev_b32_e32 v4, 16, v4
	v_sub_nc_u16 v5, v1, v4
	s_delay_alu instid0(VALU_DEP_1) | instskip(NEXT) | instid1(VALU_DEP_1)
	v_lshrrev_b16 v5, 1, v5
	v_add_nc_u16 v4, v5, v4
	s_delay_alu instid0(VALU_DEP_1) | instskip(NEXT) | instid1(VALU_DEP_1)
	v_lshrrev_b16 v4, 4, v4
	v_mul_lo_u16 v4, v4, 25
	s_delay_alu instid0(VALU_DEP_1) | instskip(NEXT) | instid1(VALU_DEP_1)
	v_sub_nc_u16 v1, v1, v4
	v_and_b32_e32 v1, 0xffff, v1
	s_delay_alu instid0(VALU_DEP_1)
	v_lshlrev_b32_e32 v4, 4, v1
	v_lshl_add_u32 v1, v1, 2, 0
	global_load_b128 v[4:7], v4, s[4:5] offset:80
	v_add_nc_u32_e32 v12, 0x1c00, v1
	s_wait_loadcnt 0x0
	v_lshrrev_b32_e32 v8, 16, v7
	v_lshrrev_b32_e32 v9, 16, v6
	;; [unrolled: 1-line block ×4, first 2 shown]
	s_delay_alu instid0(VALU_DEP_4) | instskip(NEXT) | instid1(VALU_DEP_4)
	v_mul_f16_e32 v13, v22, v8
	v_mul_f16_e32 v14, v21, v9
	s_delay_alu instid0(VALU_DEP_4) | instskip(NEXT) | instid1(VALU_DEP_4)
	v_mul_f16_e32 v15, v28, v10
	v_mul_f16_e32 v16, v27, v11
	;; [unrolled: 1-line block ×6, first 2 shown]
	v_fmac_f16_e32 v13, v25, v7
	v_fmac_f16_e32 v14, v20, v6
	;; [unrolled: 1-line block ×4, first 2 shown]
	v_fma_f16 v4, v27, v4, -v11
	v_fma_f16 v5, v28, v5, -v10
	;; [unrolled: 1-line block ×4, first 2 shown]
	v_add_f16_e32 v8, v26, v16
	v_add_f16_e32 v9, v23, v4
	v_sub_f16_e32 v10, v15, v16
	v_sub_f16_e32 v11, v14, v13
	v_add_f16_e32 v19, v16, v13
	v_add_f16_e32 v24, v15, v14
	;; [unrolled: 1-line block ×4, first 2 shown]
	v_sub_f16_e32 v17, v4, v7
	v_sub_f16_e32 v20, v5, v6
	v_sub_f16_e32 v21, v16, v15
	v_sub_f16_e32 v22, v13, v14
	v_sub_f16_e32 v25, v5, v4
	v_sub_f16_e32 v16, v16, v13
	v_sub_f16_e32 v4, v4, v5
	v_add_f16_e32 v8, v8, v15
	v_add_f16_e32 v5, v9, v5
	;; [unrolled: 1-line block ×3, first 2 shown]
	v_fma_f16 v10, -0.5, v19, v26
	v_fmac_f16_e32 v26, -0.5, v24
	v_fma_f16 v19, -0.5, v28, v23
	v_fmac_f16_e32 v23, -0.5, v31
	v_sub_f16_e32 v29, v15, v14
	v_sub_f16_e32 v30, v7, v6
	v_add_f16_e32 v11, v21, v22
	v_add_f16_e32 v8, v8, v14
	v_fmamk_f16 v14, v17, 0x3b9c, v26
	v_fmac_f16_e32 v26, 0xbb9c, v17
	v_fmamk_f16 v22, v16, 0xbb9c, v23
	v_fmac_f16_e32 v23, 0x3b9c, v16
	v_sub_f16_e32 v27, v6, v7
	v_add_f16_e32 v5, v5, v6
	v_fmamk_f16 v6, v20, 0xbb9c, v10
	v_fmac_f16_e32 v10, 0x3b9c, v20
	v_fmamk_f16 v21, v29, 0x3b9c, v19
	v_fmac_f16_e32 v19, 0xbb9c, v29
	v_add_f16_e32 v4, v4, v30
	v_fmac_f16_e32 v26, 0xb8b4, v20
	v_fmac_f16_e32 v23, 0x38b4, v29
	v_add_f16_e32 v15, v25, v27
	v_fmac_f16_e32 v6, 0x38b4, v17
	v_fmac_f16_e32 v10, 0xb8b4, v17
	;; [unrolled: 1-line block ×6, first 2 shown]
	v_add_f16_e32 v8, v8, v13
	v_add_f16_e32 v5, v5, v7
	v_fmac_f16_e32 v26, 0x34f2, v11
	v_fmac_f16_e32 v23, 0x34f2, v4
	;; [unrolled: 1-line block ×8, first 2 shown]
	v_pack_b32_f16 v4, v5, v8
	v_pack_b32_f16 v5, v23, v26
	v_pack_b32_f16 v7, v19, v10
	v_pack_b32_f16 v6, v21, v6
	v_pack_b32_f16 v8, v22, v14
	ds_store_2addr_b32 v12, v4, v5 offset0:83 offset1:108
	ds_store_2addr_b32 v12, v7, v6 offset0:133 offset1:158
	ds_store_b32 v1, v8 offset:7900
.LBB0_27:
	s_wait_alu 0xfffe
	s_or_b32 exec_lo, exec_lo, s1
	v_mul_u32_u24_e32 v1, 15, v0
	global_wb scope:SCOPE_SE
	s_wait_dscnt 0x0
	s_barrier_signal -1
	s_barrier_wait -1
	global_inv scope:SCOPE_SE
	v_lshlrev_b32_e32 v1, 2, v1
	v_add_nc_u32_e32 v37, 0xe00, v18
	v_add_nc_u32_e32 v38, 0x1200, v18
	;; [unrolled: 1-line block ×4, first 2 shown]
	s_clause 0x3
	global_load_b128 v[4:7], v1, s[4:5] offset:480
	global_load_b128 v[8:11], v1, s[4:5] offset:496
	global_load_b128 v[12:15], v1, s[4:5] offset:512
	global_load_b96 v[19:21], v1, s[4:5] offset:528
	v_add_nc_u32_e32 v1, 0x600, v18
	v_add_nc_u32_e32 v40, 0x1a00, v18
	;; [unrolled: 1-line block ×3, first 2 shown]
	ds_load_2addr_b32 v[16:17], v18 offset1:125
	ds_load_2addr_b32 v[22:23], v1 offset0:116 offset1:241
	ds_load_2addr_b32 v[24:25], v36 offset0:110 offset1:235
	;; [unrolled: 1-line block ×7, first 2 shown]
	global_wb scope:SCOPE_SE
	s_wait_loadcnt_dscnt 0x0
	s_barrier_signal -1
	s_barrier_wait -1
	global_inv scope:SCOPE_SE
	v_lshrrev_b32_e32 v42, 16, v17
	v_lshrrev_b32_e32 v44, 16, v23
	v_lshrrev_b32_e32 v45, 16, v24
	v_lshrrev_b32_e32 v46, 16, v25
	v_lshrrev_b32_e32 v47, 16, v26
	v_lshrrev_b32_e32 v48, 16, v27
	v_lshrrev_b32_e32 v49, 16, v28
	v_lshrrev_b32_e32 v50, 16, v29
	v_lshrrev_b32_e32 v51, 16, v30
	v_lshrrev_b32_e32 v52, 16, v31
	v_lshrrev_b32_e32 v53, 16, v32
	v_lshrrev_b32_e32 v54, 16, v33
	v_lshrrev_b32_e32 v55, 16, v34
	v_lshrrev_b32_e32 v56, 16, v35
	v_lshrrev_b32_e32 v57, 16, v22
	v_lshrrev_b32_e32 v43, 16, v16
	v_lshrrev_b32_e32 v58, 16, v4
	v_lshrrev_b32_e32 v59, 16, v5
	v_lshrrev_b32_e32 v60, 16, v6
	v_lshrrev_b32_e32 v61, 16, v7
	v_lshrrev_b32_e32 v62, 16, v8
	v_lshrrev_b32_e32 v63, 16, v9
	v_lshrrev_b32_e32 v64, 16, v10
	v_lshrrev_b32_e32 v65, 16, v11
	v_lshrrev_b32_e32 v66, 16, v12
	v_lshrrev_b32_e32 v67, 16, v13
	v_lshrrev_b32_e32 v68, 16, v14
	v_lshrrev_b32_e32 v69, 16, v15
	v_lshrrev_b32_e32 v70, 16, v19
	v_lshrrev_b32_e32 v71, 16, v20
	v_lshrrev_b32_e32 v72, 16, v21
	v_mul_f16_e32 v73, v58, v42
	v_mul_f16_e32 v58, v58, v17
	;; [unrolled: 1-line block ×30, first 2 shown]
	v_fma_f16 v17, v4, v17, -v73
	v_fmac_f16_e32 v58, v4, v42
	v_fma_f16 v4, v5, v34, -v74
	v_fmac_f16_e32 v59, v5, v55
	;; [unrolled: 2-line block ×15, first 2 shown]
	v_sub_f16_e32 v10, v16, v10
	v_sub_f16_e32 v21, v43, v65
	;; [unrolled: 1-line block ×16, first 2 shown]
	v_fma_f16 v16, v16, 2.0, -v10
	v_fma_f16 v29, v43, 2.0, -v21
	;; [unrolled: 1-line block ×16, first 2 shown]
	v_sub_f16_e32 v22, v10, v22
	v_add_f16_e32 v14, v21, v14
	v_sub_f16_e32 v24, v12, v24
	v_add_f16_e32 v19, v23, v19
	;; [unrolled: 2-line block ×4, first 2 shown]
	v_sub_f16_e32 v6, v16, v6
	v_sub_f16_e32 v30, v29, v30
	v_fma_f16 v10, v10, 2.0, -v22
	v_fma_f16 v21, v21, 2.0, -v14
	v_sub_f16_e32 v8, v4, v8
	v_sub_f16_e32 v32, v31, v32
	v_fma_f16 v12, v12, 2.0, -v24
	v_fma_f16 v23, v23, 2.0, -v19
	;; [unrolled: 4-line block ×4, first 2 shown]
	v_fmamk_f16 v43, v24, 0x39a8, v22
	v_fmamk_f16 v44, v19, 0x39a8, v14
	;; [unrolled: 1-line block ×4, first 2 shown]
	v_fma_f16 v16, v16, 2.0, -v6
	v_fma_f16 v29, v29, 2.0, -v30
	v_fma_f16 v4, v4, 2.0, -v8
	v_fma_f16 v31, v31, 2.0, -v32
	v_fma_f16 v17, v17, 2.0, -v7
	v_fma_f16 v33, v33, 2.0, -v34
	v_fma_f16 v5, v5, 2.0, -v9
	v_fma_f16 v35, v35, 2.0, -v42
	v_fmamk_f16 v47, v12, 0xb9a8, v10
	v_fmamk_f16 v48, v23, 0xb9a8, v21
	v_fmac_f16_e32 v43, 0xb9a8, v19
	v_fmac_f16_e32 v44, 0x39a8, v24
	v_fmamk_f16 v19, v13, 0xb9a8, v11
	v_fmamk_f16 v24, v27, 0xb9a8, v25
	v_sub_f16_e32 v32, v6, v32
	v_add_f16_e32 v8, v30, v8
	v_sub_f16_e32 v42, v7, v42
	v_add_f16_e32 v9, v34, v9
	v_fmac_f16_e32 v45, 0xb9a8, v20
	v_fmac_f16_e32 v46, 0x39a8, v28
	v_sub_f16_e32 v4, v16, v4
	v_sub_f16_e32 v20, v29, v31
	v_fmac_f16_e32 v47, 0xb9a8, v23
	v_fmac_f16_e32 v48, 0x39a8, v12
	v_sub_f16_e32 v5, v17, v5
	v_sub_f16_e32 v23, v33, v35
	v_fmac_f16_e32 v19, 0xb9a8, v27
	v_fmac_f16_e32 v24, 0x39a8, v13
	v_fma_f16 v6, v6, 2.0, -v32
	v_fma_f16 v12, v30, 2.0, -v8
	;; [unrolled: 1-line block ×8, first 2 shown]
	v_fmamk_f16 v27, v42, 0x39a8, v32
	v_fmamk_f16 v28, v9, 0x39a8, v8
	;; [unrolled: 1-line block ×4, first 2 shown]
	v_fma_f16 v16, v16, 2.0, -v4
	v_fma_f16 v29, v29, 2.0, -v20
	;; [unrolled: 1-line block ×8, first 2 shown]
	v_fmamk_f16 v34, v7, 0xb9a8, v6
	v_fmamk_f16 v35, v13, 0xb9a8, v12
	;; [unrolled: 1-line block ×6, first 2 shown]
	v_sub_f16_e32 v23, v4, v23
	v_add_f16_e32 v5, v20, v5
	v_fmac_f16_e32 v27, 0xb9a8, v9
	v_fmac_f16_e32 v28, 0x39a8, v42
	;; [unrolled: 1-line block ×4, first 2 shown]
	v_sub_f16_e32 v9, v16, v17
	v_sub_f16_e32 v17, v29, v33
	v_fmamk_f16 v33, v11, 0xbb64, v10
	v_fmamk_f16 v42, v25, 0xbb64, v21
	v_fmac_f16_e32 v34, 0xb9a8, v13
	v_fmac_f16_e32 v35, 0x39a8, v7
	;; [unrolled: 1-line block ×6, first 2 shown]
	v_fma_f16 v4, v4, 2.0, -v23
	v_fma_f16 v7, v20, 2.0, -v5
	;; [unrolled: 1-line block ×6, first 2 shown]
	v_fmac_f16_e32 v33, 0xb61f, v25
	v_fmac_f16_e32 v42, 0x361f, v11
	v_fma_f16 v6, v6, 2.0, -v34
	v_fma_f16 v11, v12, 2.0, -v35
	;; [unrolled: 1-line block ×6, first 2 shown]
	v_pack_b32_f16 v4, v4, v7
	v_pack_b32_f16 v7, v13, v8
	;; [unrolled: 1-line block ×3, first 2 shown]
	v_fma_f16 v16, v16, 2.0, -v9
	v_fma_f16 v24, v29, 2.0, -v17
	;; [unrolled: 1-line block ×4, first 2 shown]
	v_pack_b32_f16 v5, v23, v5
	v_pack_b32_f16 v20, v27, v28
	;; [unrolled: 1-line block ×10, first 2 shown]
	ds_store_2addr_b32 v36, v7, v8 offset0:110 offset1:235
	v_pack_b32_f16 v7, v33, v42
	v_pack_b32_f16 v16, v16, v24
	;; [unrolled: 1-line block ×3, first 2 shown]
	ds_store_2addr_b32 v40, v20, v23 offset0:86 offset1:211
	ds_store_2addr_b32 v38, v13, v15 offset0:98 offset1:223
	;; [unrolled: 1-line block ×6, first 2 shown]
	ds_store_2addr_b32 v18, v16, v8 offset1:125
	global_wb scope:SCOPE_SE
	s_wait_dscnt 0x0
	s_barrier_signal -1
	s_barrier_wait -1
	global_inv scope:SCOPE_SE
	s_and_saveexec_b32 s0, vcc_lo
	s_cbranch_execz .LBB0_29
; %bb.28:
	v_dual_mov_b32 v1, 0 :: v_dual_add_nc_u32 v6, 0x7d, v0
	v_add_co_u32 v31, vcc_lo, s8, v2
	s_wait_alu 0xfffd
	v_add_co_ci_u32_e32 v32, vcc_lo, s9, v3, vcc_lo
	s_delay_alu instid0(VALU_DEP_3) | instskip(SKIP_3) | instid1(VALU_DEP_4)
	v_dual_mov_b32 v7, v1 :: v_dual_add_nc_u32 v8, 0xfa, v0
	v_lshlrev_b64_e32 v[2:3], 2, v[0:1]
	v_lshl_add_u32 v30, v0, 2, 0
	v_mov_b32_e32 v9, v1
	v_lshlrev_b64_e32 v[6:7], 2, v[6:7]
	v_dual_mov_b32 v11, v1 :: v_dual_add_nc_u32 v10, 0x177, v0
	v_add_co_u32 v2, vcc_lo, v31, v2
	v_add_nc_u32_e32 v12, 0x200, v30
	v_lshlrev_b64_e32 v[8:9], 2, v[8:9]
	v_dual_mov_b32 v15, v1 :: v_dual_add_nc_u32 v14, 0x1f4, v0
	s_wait_alu 0xfffd
	v_add_co_ci_u32_e32 v3, vcc_lo, v32, v3, vcc_lo
	v_dual_mov_b32 v19, v1 :: v_dual_add_nc_u32 v16, 0x600, v30
	ds_load_2addr_b32 v[4:5], v30 offset1:125
	v_add_co_u32 v6, vcc_lo, v31, v6
	v_lshlrev_b64_e32 v[10:11], 2, v[10:11]
	v_dual_mov_b32 v21, v1 :: v_dual_add_nc_u32 v18, 0x271, v0
	v_dual_mov_b32 v27, v1 :: v_dual_add_nc_u32 v24, 0xa00, v30
	s_wait_alu 0xfffd
	v_add_co_ci_u32_e32 v7, vcc_lo, v32, v7, vcc_lo
	ds_load_2addr_b32 v[12:13], v12 offset0:122 offset1:247
	v_add_co_u32 v8, vcc_lo, v31, v8
	v_lshlrev_b64_e32 v[14:15], 2, v[14:15]
	ds_load_2addr_b32 v[16:17], v16 offset0:116 offset1:241
	v_dual_mov_b32 v23, v1 :: v_dual_add_nc_u32 v20, 0x2ee, v0
	s_wait_alu 0xfffd
	v_add_co_ci_u32_e32 v9, vcc_lo, v32, v9, vcc_lo
	v_add_co_u32 v10, vcc_lo, v31, v10
	v_lshlrev_b64_e32 v[18:19], 2, v[18:19]
	ds_load_2addr_b32 v[24:25], v24 offset0:110 offset1:235
	v_dual_mov_b32 v29, v1 :: v_dual_add_nc_u32 v22, 0x36b, v0
	s_wait_alu 0xfffd
	v_add_co_ci_u32_e32 v11, vcc_lo, v32, v11, vcc_lo
	v_add_co_u32 v14, vcc_lo, v31, v14
	v_lshlrev_b64_e32 v[20:21], 2, v[20:21]
	s_wait_alu 0xfffd
	v_add_co_ci_u32_e32 v15, vcc_lo, v32, v15, vcc_lo
	v_add_co_u32 v18, vcc_lo, v31, v18
	v_lshlrev_b64_e32 v[22:23], 2, v[22:23]
	s_wait_alu 0xfffd
	v_add_co_ci_u32_e32 v19, vcc_lo, v32, v19, vcc_lo
	v_add_co_u32 v20, vcc_lo, v31, v20
	v_add_nc_u32_e32 v26, 0x3e8, v0
	s_wait_alu 0xfffd
	v_add_co_ci_u32_e32 v21, vcc_lo, v32, v21, vcc_lo
	v_add_co_u32 v22, vcc_lo, v31, v22
	v_add_nc_u32_e32 v28, 0x465, v0
	s_wait_alu 0xfffd
	v_add_co_ci_u32_e32 v23, vcc_lo, v32, v23, vcc_lo
	s_wait_dscnt 0x3
	s_clause 0x1
	global_store_b32 v[2:3], v4, off
	global_store_b32 v[6:7], v5, off
	s_wait_dscnt 0x2
	s_clause 0x1
	global_store_b32 v[8:9], v12, off
	global_store_b32 v[10:11], v13, off
	;; [unrolled: 4-line block ×4, first 2 shown]
	v_mov_b32_e32 v13, v1
	v_mov_b32_e32 v9, v1
	v_lshlrev_b64_e32 v[2:3], 2, v[26:27]
	v_dual_mov_b32 v15, v1 :: v_dual_add_nc_u32 v8, 0x4e2, v0
	v_lshlrev_b64_e32 v[6:7], 2, v[28:29]
	v_add_nc_u32_e32 v33, 0xe00, v30
	v_dual_mov_b32 v21, v1 :: v_dual_add_nc_u32 v12, 0x55f, v0
	v_add_co_u32 v2, vcc_lo, v31, v2
	v_dual_mov_b32 v17, v1 :: v_dual_add_nc_u32 v10, 0x1200, v30
	v_lshlrev_b64_e32 v[8:9], 2, v[8:9]
	v_add_nc_u32_e32 v14, 0x5dc, v0
	s_wait_alu 0xfffd
	v_add_co_ci_u32_e32 v3, vcc_lo, v32, v3, vcc_lo
	v_add_nc_u32_e32 v18, 0x1600, v30
	ds_load_2addr_b32 v[4:5], v33 offset0:104 offset1:229
	v_add_co_u32 v6, vcc_lo, v31, v6
	v_lshlrev_b64_e32 v[12:13], 2, v[12:13]
	v_add_nc_u32_e32 v16, 0x659, v0
	v_add_nc_u32_e32 v22, 0x1a00, v30
	s_wait_alu 0xfffd
	v_add_co_ci_u32_e32 v7, vcc_lo, v32, v7, vcc_lo
	ds_load_2addr_b32 v[10:11], v10 offset0:98 offset1:223
	v_add_co_u32 v8, vcc_lo, v31, v8
	v_lshlrev_b64_e32 v[14:15], 2, v[14:15]
	ds_load_2addr_b32 v[18:19], v18 offset0:92 offset1:217
	v_add_nc_u32_e32 v20, 0x6d6, v0
	s_wait_alu 0xfffd
	v_add_co_ci_u32_e32 v9, vcc_lo, v32, v9, vcc_lo
	v_add_co_u32 v12, vcc_lo, v31, v12
	v_lshlrev_b64_e32 v[16:17], 2, v[16:17]
	ds_load_2addr_b32 v[22:23], v22 offset0:86 offset1:211
	v_add_nc_u32_e32 v0, 0x753, v0
	s_wait_alu 0xfffd
	v_add_co_ci_u32_e32 v13, vcc_lo, v32, v13, vcc_lo
	v_add_co_u32 v14, vcc_lo, v31, v14
	v_lshlrev_b64_e32 v[20:21], 2, v[20:21]
	s_wait_alu 0xfffd
	v_add_co_ci_u32_e32 v15, vcc_lo, v32, v15, vcc_lo
	v_add_co_u32 v16, vcc_lo, v31, v16
	v_lshlrev_b64_e32 v[0:1], 2, v[0:1]
	s_wait_alu 0xfffd
	v_add_co_ci_u32_e32 v17, vcc_lo, v32, v17, vcc_lo
	v_add_co_u32 v20, vcc_lo, v31, v20
	s_wait_alu 0xfffd
	v_add_co_ci_u32_e32 v21, vcc_lo, v32, v21, vcc_lo
	v_add_co_u32 v0, vcc_lo, v31, v0
	s_wait_alu 0xfffd
	v_add_co_ci_u32_e32 v1, vcc_lo, v32, v1, vcc_lo
	s_wait_dscnt 0x3
	s_clause 0x1
	global_store_b32 v[2:3], v4, off
	global_store_b32 v[6:7], v5, off
	s_wait_dscnt 0x2
	s_clause 0x1
	global_store_b32 v[8:9], v10, off
	global_store_b32 v[12:13], v11, off
	;; [unrolled: 4-line block ×4, first 2 shown]
.LBB0_29:
	s_nop 0
	s_sendmsg sendmsg(MSG_DEALLOC_VGPRS)
	s_endpgm
	.section	.rodata,"a",@progbits
	.p2align	6, 0x0
	.amdhsa_kernel fft_rtc_fwd_len2000_factors_5_5_5_16_wgs_125_tpt_125_halfLds_half_ip_CI_unitstride_sbrr_C2R_dirReg
		.amdhsa_group_segment_fixed_size 0
		.amdhsa_private_segment_fixed_size 0
		.amdhsa_kernarg_size 88
		.amdhsa_user_sgpr_count 2
		.amdhsa_user_sgpr_dispatch_ptr 0
		.amdhsa_user_sgpr_queue_ptr 0
		.amdhsa_user_sgpr_kernarg_segment_ptr 1
		.amdhsa_user_sgpr_dispatch_id 0
		.amdhsa_user_sgpr_private_segment_size 0
		.amdhsa_wavefront_size32 1
		.amdhsa_uses_dynamic_stack 0
		.amdhsa_enable_private_segment 0
		.amdhsa_system_sgpr_workgroup_id_x 1
		.amdhsa_system_sgpr_workgroup_id_y 0
		.amdhsa_system_sgpr_workgroup_id_z 0
		.amdhsa_system_sgpr_workgroup_info 0
		.amdhsa_system_vgpr_workitem_id 0
		.amdhsa_next_free_vgpr 94
		.amdhsa_next_free_sgpr 32
		.amdhsa_reserve_vcc 1
		.amdhsa_float_round_mode_32 0
		.amdhsa_float_round_mode_16_64 0
		.amdhsa_float_denorm_mode_32 3
		.amdhsa_float_denorm_mode_16_64 3
		.amdhsa_fp16_overflow 0
		.amdhsa_workgroup_processor_mode 1
		.amdhsa_memory_ordered 1
		.amdhsa_forward_progress 0
		.amdhsa_round_robin_scheduling 0
		.amdhsa_exception_fp_ieee_invalid_op 0
		.amdhsa_exception_fp_denorm_src 0
		.amdhsa_exception_fp_ieee_div_zero 0
		.amdhsa_exception_fp_ieee_overflow 0
		.amdhsa_exception_fp_ieee_underflow 0
		.amdhsa_exception_fp_ieee_inexact 0
		.amdhsa_exception_int_div_zero 0
	.end_amdhsa_kernel
	.text
.Lfunc_end0:
	.size	fft_rtc_fwd_len2000_factors_5_5_5_16_wgs_125_tpt_125_halfLds_half_ip_CI_unitstride_sbrr_C2R_dirReg, .Lfunc_end0-fft_rtc_fwd_len2000_factors_5_5_5_16_wgs_125_tpt_125_halfLds_half_ip_CI_unitstride_sbrr_C2R_dirReg
                                        ; -- End function
	.section	.AMDGPU.csdata,"",@progbits
; Kernel info:
; codeLenInByte = 13488
; NumSgprs: 34
; NumVgprs: 94
; ScratchSize: 0
; MemoryBound: 0
; FloatMode: 240
; IeeeMode: 1
; LDSByteSize: 0 bytes/workgroup (compile time only)
; SGPRBlocks: 4
; VGPRBlocks: 11
; NumSGPRsForWavesPerEU: 34
; NumVGPRsForWavesPerEU: 94
; Occupancy: 16
; WaveLimiterHint : 1
; COMPUTE_PGM_RSRC2:SCRATCH_EN: 0
; COMPUTE_PGM_RSRC2:USER_SGPR: 2
; COMPUTE_PGM_RSRC2:TRAP_HANDLER: 0
; COMPUTE_PGM_RSRC2:TGID_X_EN: 1
; COMPUTE_PGM_RSRC2:TGID_Y_EN: 0
; COMPUTE_PGM_RSRC2:TGID_Z_EN: 0
; COMPUTE_PGM_RSRC2:TIDIG_COMP_CNT: 0
	.text
	.p2alignl 7, 3214868480
	.fill 96, 4, 3214868480
	.type	__hip_cuid_5385c21b431681d6,@object ; @__hip_cuid_5385c21b431681d6
	.section	.bss,"aw",@nobits
	.globl	__hip_cuid_5385c21b431681d6
__hip_cuid_5385c21b431681d6:
	.byte	0                               ; 0x0
	.size	__hip_cuid_5385c21b431681d6, 1

	.ident	"AMD clang version 19.0.0git (https://github.com/RadeonOpenCompute/llvm-project roc-6.4.0 25133 c7fe45cf4b819c5991fe208aaa96edf142730f1d)"
	.section	".note.GNU-stack","",@progbits
	.addrsig
	.addrsig_sym __hip_cuid_5385c21b431681d6
	.amdgpu_metadata
---
amdhsa.kernels:
  - .args:
      - .actual_access:  read_only
        .address_space:  global
        .offset:         0
        .size:           8
        .value_kind:     global_buffer
      - .offset:         8
        .size:           8
        .value_kind:     by_value
      - .actual_access:  read_only
        .address_space:  global
        .offset:         16
        .size:           8
        .value_kind:     global_buffer
      - .actual_access:  read_only
        .address_space:  global
        .offset:         24
        .size:           8
        .value_kind:     global_buffer
      - .offset:         32
        .size:           8
        .value_kind:     by_value
      - .actual_access:  read_only
        .address_space:  global
        .offset:         40
        .size:           8
        .value_kind:     global_buffer
      - .actual_access:  read_only
        .address_space:  global
        .offset:         48
        .size:           8
        .value_kind:     global_buffer
      - .offset:         56
        .size:           4
        .value_kind:     by_value
      - .actual_access:  read_only
        .address_space:  global
        .offset:         64
        .size:           8
        .value_kind:     global_buffer
      - .actual_access:  read_only
        .address_space:  global
        .offset:         72
        .size:           8
        .value_kind:     global_buffer
      - .address_space:  global
        .offset:         80
        .size:           8
        .value_kind:     global_buffer
    .group_segment_fixed_size: 0
    .kernarg_segment_align: 8
    .kernarg_segment_size: 88
    .language:       OpenCL C
    .language_version:
      - 2
      - 0
    .max_flat_workgroup_size: 125
    .name:           fft_rtc_fwd_len2000_factors_5_5_5_16_wgs_125_tpt_125_halfLds_half_ip_CI_unitstride_sbrr_C2R_dirReg
    .private_segment_fixed_size: 0
    .sgpr_count:     34
    .sgpr_spill_count: 0
    .symbol:         fft_rtc_fwd_len2000_factors_5_5_5_16_wgs_125_tpt_125_halfLds_half_ip_CI_unitstride_sbrr_C2R_dirReg.kd
    .uniform_work_group_size: 1
    .uses_dynamic_stack: false
    .vgpr_count:     94
    .vgpr_spill_count: 0
    .wavefront_size: 32
    .workgroup_processor_mode: 1
amdhsa.target:   amdgcn-amd-amdhsa--gfx1201
amdhsa.version:
  - 1
  - 2
...

	.end_amdgpu_metadata
